;; amdgpu-corpus repo=ROCm/rocFFT kind=compiled arch=gfx1201 opt=O3
	.text
	.amdgcn_target "amdgcn-amd-amdhsa--gfx1201"
	.amdhsa_code_object_version 6
	.protected	bluestein_single_back_len567_dim1_sp_op_CI_CI ; -- Begin function bluestein_single_back_len567_dim1_sp_op_CI_CI
	.globl	bluestein_single_back_len567_dim1_sp_op_CI_CI
	.p2align	8
	.type	bluestein_single_back_len567_dim1_sp_op_CI_CI,@function
bluestein_single_back_len567_dim1_sp_op_CI_CI: ; @bluestein_single_back_len567_dim1_sp_op_CI_CI
; %bb.0:
	s_load_b128 s[12:15], s[0:1], 0x28
	v_mul_u32_u24_e32 v1, 0x411, v0
	s_mov_b32 s2, exec_lo
	v_mov_b32_e32 v65, 0
	s_delay_alu instid0(VALU_DEP_2) | instskip(NEXT) | instid1(VALU_DEP_1)
	v_lshrrev_b32_e32 v1, 16, v1
	v_add_nc_u32_e32 v64, ttmp9, v1
	s_wait_kmcnt 0x0
	s_delay_alu instid0(VALU_DEP_1)
	v_cmpx_gt_u64_e64 s[12:13], v[64:65]
	s_cbranch_execz .LBB0_15
; %bb.1:
	s_clause 0x1
	s_load_b128 s[4:7], s[0:1], 0x18
	s_load_b64 s[12:13], s[0:1], 0x0
	v_mul_lo_u16 v1, v1, 63
	s_delay_alu instid0(VALU_DEP_1) | instskip(NEXT) | instid1(VALU_DEP_1)
	v_sub_nc_u16 v22, v0, v1
	v_and_b32_e32 v84, 0xffff, v22
	s_wait_kmcnt 0x0
	s_load_b128 s[8:11], s[4:5], 0x0
	s_wait_kmcnt 0x0
	v_mad_co_u64_u32 v[0:1], null, s10, v64, 0
	v_mad_co_u64_u32 v[2:3], null, s8, v84, 0
	s_mul_u64 s[2:3], s[8:9], 0x51
	s_delay_alu instid0(VALU_DEP_1) | instskip(NEXT) | instid1(VALU_DEP_1)
	v_mad_co_u64_u32 v[4:5], null, s11, v64, v[1:2]
	v_mov_b32_e32 v1, v4
	s_delay_alu instid0(VALU_DEP_3)
	v_mad_co_u64_u32 v[5:6], null, s9, v84, v[3:4]
	v_lshlrev_b32_e32 v83, 3, v84
	s_clause 0x3
	global_load_b64 v[71:72], v83, s[12:13]
	global_load_b64 v[73:74], v83, s[12:13] offset:648
	global_load_b64 v[65:66], v83, s[12:13] offset:1296
	;; [unrolled: 1-line block ×3, first 2 shown]
	v_mov_b32_e32 v3, v5
	v_lshlrev_b64_e32 v[0:1], 3, v[0:1]
	s_delay_alu instid0(VALU_DEP_2) | instskip(NEXT) | instid1(VALU_DEP_2)
	v_lshlrev_b64_e32 v[2:3], 3, v[2:3]
	v_add_co_u32 v0, vcc_lo, s14, v0
	s_delay_alu instid0(VALU_DEP_3) | instskip(SKIP_1) | instid1(VALU_DEP_2)
	v_add_co_ci_u32_e32 v1, vcc_lo, s15, v1, vcc_lo
	s_lshl_b64 s[14:15], s[2:3], 3
	v_add_co_u32 v0, vcc_lo, v0, v2
	s_wait_alu 0xfffd
	s_delay_alu instid0(VALU_DEP_2) | instskip(SKIP_1) | instid1(VALU_DEP_2)
	v_add_co_ci_u32_e32 v1, vcc_lo, v1, v3, vcc_lo
	s_wait_alu 0xfffe
	v_add_co_u32 v2, vcc_lo, v0, s14
	s_wait_alu 0xfffd
	s_delay_alu instid0(VALU_DEP_2)
	v_add_co_ci_u32_e32 v3, vcc_lo, s15, v1, vcc_lo
	global_load_b64 v[6:7], v[0:1], off
	v_add_co_u32 v4, vcc_lo, v2, s14
	global_load_b64 v[8:9], v[2:3], off
	s_wait_alu 0xfffd
	v_add_co_ci_u32_e32 v5, vcc_lo, s15, v3, vcc_lo
	v_add_co_u32 v0, vcc_lo, v4, s14
	s_wait_alu 0xfffd
	s_delay_alu instid0(VALU_DEP_2) | instskip(NEXT) | instid1(VALU_DEP_2)
	v_add_co_ci_u32_e32 v1, vcc_lo, s15, v5, vcc_lo
	v_add_co_u32 v2, vcc_lo, v0, s14
	s_wait_alu 0xfffd
	s_delay_alu instid0(VALU_DEP_2) | instskip(NEXT) | instid1(VALU_DEP_2)
	v_add_co_ci_u32_e32 v3, vcc_lo, s15, v1, vcc_lo
	v_add_co_u32 v12, vcc_lo, v2, s14
	s_wait_alu 0xfffd
	s_delay_alu instid0(VALU_DEP_2)
	v_add_co_ci_u32_e32 v13, vcc_lo, s15, v3, vcc_lo
	s_wait_loadcnt 0x1
	v_mul_f32_e32 v18, v7, v72
	s_wait_loadcnt 0x0
	v_mul_f32_e32 v20, v9, v74
	global_load_b64 v[69:70], v83, s[12:13] offset:2592
	s_clause 0x2
	global_load_b64 v[4:5], v[4:5], off
	global_load_b64 v[10:11], v[0:1], off
	;; [unrolled: 1-line block ×3, first 2 shown]
	v_add_co_u32 v0, vcc_lo, v12, s14
	s_wait_alu 0xfffd
	v_add_co_ci_u32_e32 v1, vcc_lo, s15, v13, vcc_lo
	global_load_b64 v[12:13], v[12:13], off
	s_clause 0x1
	global_load_b64 v[75:76], v83, s[12:13] offset:3240
	global_load_b64 v[77:78], v83, s[12:13] offset:3888
	global_load_b64 v[16:17], v[0:1], off
	s_load_b64 s[10:11], s[0:1], 0x38
	s_load_b128 s[4:7], s[6:7], 0x0
	v_dual_mul_f32 v3, v6, v72 :: v_dual_add_nc_u32 v2, 0x800, v83
	v_dual_mul_f32 v21, v8, v74 :: v_dual_fmac_f32 v18, v6, v71
	v_fmac_f32_e32 v20, v8, v73
	s_delay_alu instid0(VALU_DEP_3) | instskip(SKIP_1) | instid1(VALU_DEP_4)
	v_fma_f32 v19, v7, v71, -v3
	v_add_co_u32 v62, s2, s12, v83
	v_fma_f32 v21, v9, v73, -v21
	v_add_co_ci_u32_e64 v63, null, s13, 0, s2
	v_cmp_gt_u16_e32 vcc_lo, 18, v22
	s_wait_loadcnt 0x6
	v_mul_f32_e32 v3, v5, v66
	s_wait_loadcnt 0x5
	v_dual_mul_f32 v7, v4, v66 :: v_dual_mul_f32 v6, v11, v68
	s_wait_loadcnt 0x4
	v_dual_mul_f32 v9, v10, v68 :: v_dual_mul_f32 v8, v15, v70
	v_fmac_f32_e32 v3, v4, v65
	s_delay_alu instid0(VALU_DEP_3) | instskip(SKIP_1) | instid1(VALU_DEP_4)
	v_fma_f32 v4, v5, v65, -v7
	v_fmac_f32_e32 v6, v10, v67
	v_fma_f32 v7, v11, v67, -v9
	s_wait_loadcnt 0x2
	v_dual_mul_f32 v5, v14, v70 :: v_dual_mul_f32 v10, v13, v76
	v_dual_fmac_f32 v8, v14, v69 :: v_dual_mul_f32 v11, v12, v76
	s_wait_loadcnt 0x0
	v_mul_f32_e32 v14, v17, v78
	v_mul_f32_e32 v23, v16, v78
	v_fma_f32 v9, v15, v69, -v5
	v_fmac_f32_e32 v10, v12, v75
	v_fma_f32 v11, v13, v75, -v11
	v_fmac_f32_e32 v14, v16, v77
	v_fma_f32 v15, v17, v77, -v23
	ds_store_2addr_b64 v83, v[18:19], v[20:21] offset1:81
	ds_store_2addr_b64 v83, v[3:4], v[6:7] offset0:162 offset1:243
	ds_store_2addr_b64 v2, v[8:9], v[10:11] offset0:68 offset1:149
	ds_store_b64 v83, v[14:15] offset:3888
	s_and_saveexec_b32 s3, vcc_lo
	s_cbranch_execz .LBB0_3
; %bb.2:
	v_mad_co_u64_u32 v[0:1], null, 0xfffff2c8, s8, v[0:1]
	s_mul_i32 s2, s9, 0xfffff2c8
	s_clause 0x3
	global_load_b64 v[3:4], v[62:63], off offset:504
	global_load_b64 v[5:6], v[62:63], off offset:1152
	;; [unrolled: 1-line block ×4, first 2 shown]
	s_wait_alu 0xfffe
	s_sub_co_i32 s2, s2, s8
	global_load_b64 v[11:12], v[62:63], off offset:3096
	s_wait_alu 0xfffe
	v_add_nc_u32_e32 v1, s2, v1
	v_add_co_u32 v13, s2, v0, s14
	s_wait_alu 0xf1ff
	s_delay_alu instid0(VALU_DEP_2) | instskip(NEXT) | instid1(VALU_DEP_2)
	v_add_co_ci_u32_e64 v14, s2, s15, v1, s2
	v_add_co_u32 v15, s2, v13, s14
	global_load_b64 v[0:1], v[0:1], off
	s_wait_alu 0xf1ff
	v_add_co_ci_u32_e64 v16, s2, s15, v14, s2
	v_add_co_u32 v17, s2, v15, s14
	global_load_b64 v[13:14], v[13:14], off
	s_wait_alu 0xf1ff
	;; [unrolled: 4-line block ×5, first 2 shown]
	v_add_co_ci_u32_e64 v24, s2, s15, v22, s2
	global_load_b64 v[21:22], v[21:22], off
	s_clause 0x1
	global_load_b64 v[25:26], v[62:63], off offset:3744
	global_load_b64 v[27:28], v[62:63], off offset:4392
	global_load_b64 v[23:24], v[23:24], off
	v_add_nc_u32_e32 v31, 0x400, v83
	s_wait_loadcnt 0x8
	v_mul_f32_e32 v29, v1, v4
	v_mul_f32_e32 v30, v0, v4
	s_wait_loadcnt 0x7
	v_mul_f32_e32 v4, v14, v6
	s_delay_alu instid0(VALU_DEP_3) | instskip(NEXT) | instid1(VALU_DEP_3)
	v_dual_mul_f32 v6, v13, v6 :: v_dual_fmac_f32 v29, v0, v3
	v_fma_f32 v30, v1, v3, -v30
	s_delay_alu instid0(VALU_DEP_3)
	v_fmac_f32_e32 v4, v13, v5
	s_wait_loadcnt 0x6
	v_mul_f32_e32 v0, v16, v8
	v_fma_f32 v5, v14, v5, -v6
	s_wait_loadcnt 0x5
	v_dual_mul_f32 v1, v15, v8 :: v_dual_mul_f32 v6, v18, v10
	s_delay_alu instid0(VALU_DEP_3) | instskip(NEXT) | instid1(VALU_DEP_2)
	v_dual_mul_f32 v3, v17, v10 :: v_dual_fmac_f32 v0, v15, v7
	v_fma_f32 v1, v16, v7, -v1
	s_wait_loadcnt 0x2
	v_dual_mul_f32 v8, v20, v12 :: v_dual_mul_f32 v13, v21, v26
	v_fmac_f32_e32 v6, v17, v9
	v_fma_f32 v7, v18, v9, -v3
	v_dual_mul_f32 v3, v19, v12 :: v_dual_mul_f32 v10, v22, v26
	s_wait_loadcnt 0x0
	v_mul_f32_e32 v12, v24, v28
	v_mul_f32_e32 v14, v23, v28
	v_fmac_f32_e32 v8, v19, v11
	v_fma_f32 v9, v20, v11, -v3
	v_fmac_f32_e32 v10, v21, v25
	v_fma_f32 v11, v22, v25, -v13
	;; [unrolled: 2-line block ×3, first 2 shown]
	ds_store_2addr_b64 v83, v[29:30], v[4:5] offset0:63 offset1:144
	ds_store_2addr_b64 v31, v[0:1], v[6:7] offset0:97 offset1:178
	;; [unrolled: 1-line block ×3, first 2 shown]
	ds_store_b64 v83, v[12:13] offset:4392
.LBB0_3:
	s_wait_alu 0xfffe
	s_or_b32 exec_lo, exec_lo, s3
	global_wb scope:SCOPE_SE
	s_wait_dscnt 0x0
	s_wait_kmcnt 0x0
	s_barrier_signal -1
	s_barrier_wait -1
	global_inv scope:SCOPE_SE
	ds_load_2addr_b64 v[12:15], v83 offset1:81
	ds_load_2addr_b64 v[16:19], v83 offset0:162 offset1:243
	ds_load_2addr_b64 v[20:23], v2 offset0:68 offset1:149
	ds_load_b64 v[26:27], v83 offset:3888
	s_load_b64 s[0:1], s[0:1], 0x8
	v_mov_b32_e32 v2, 0
	v_mov_b32_e32 v3, 0
	s_delay_alu instid0(VALU_DEP_2) | instskip(NEXT) | instid1(VALU_DEP_2)
	v_mov_b32_e32 v0, v2
                                        ; implicit-def: $vgpr24
	v_mov_b32_e32 v1, v3
	v_dual_mov_b32 v5, v3 :: v_dual_mov_b32 v4, v2
	v_dual_mov_b32 v9, v3 :: v_dual_mov_b32 v8, v2
	s_and_saveexec_b32 s2, vcc_lo
	s_cbranch_execz .LBB0_5
; %bb.4:
	v_add_nc_u32_e32 v4, 0x400, v83
	v_add_nc_u32_e32 v8, 0x800, v83
	ds_load_2addr_b64 v[0:3], v83 offset0:63 offset1:144
	ds_load_2addr_b64 v[4:7], v4 offset0:97 offset1:178
	;; [unrolled: 1-line block ×3, first 2 shown]
	ds_load_b64 v[24:25], v83 offset:4392
.LBB0_5:
	s_wait_alu 0xfffe
	s_or_b32 exec_lo, exec_lo, s2
	s_wait_dscnt 0x0
	v_dual_add_f32 v28, v14, v26 :: v_dual_add_f32 v29, v15, v27
	v_dual_sub_f32 v14, v14, v26 :: v_dual_sub_f32 v15, v15, v27
	v_dual_add_f32 v26, v16, v22 :: v_dual_add_f32 v27, v17, v23
	v_dual_sub_f32 v16, v16, v22 :: v_dual_sub_f32 v17, v17, v23
	;; [unrolled: 2-line block ×3, first 2 shown]
	s_delay_alu instid0(VALU_DEP_4) | instskip(SKIP_1) | instid1(VALU_DEP_4)
	v_dual_add_f32 v20, v26, v28 :: v_dual_add_f32 v21, v27, v29
	v_dual_sub_f32 v30, v26, v28 :: v_dual_sub_f32 v31, v27, v29
	v_dual_sub_f32 v28, v28, v22 :: v_dual_sub_f32 v29, v29, v23
	;; [unrolled: 1-line block ×3, first 2 shown]
	v_dual_add_f32 v33, v18, v16 :: v_dual_add_f32 v34, v19, v17
	v_dual_sub_f32 v35, v18, v16 :: v_dual_sub_f32 v36, v19, v17
	v_dual_sub_f32 v16, v16, v14 :: v_dual_add_f32 v21, v23, v21
	v_dual_add_f32 v20, v22, v20 :: v_dual_sub_f32 v17, v17, v15
	v_dual_sub_f32 v18, v14, v18 :: v_dual_sub_f32 v19, v15, v19
	v_dual_add_f32 v14, v33, v14 :: v_dual_add_f32 v15, v34, v15
	s_delay_alu instid0(VALU_DEP_3)
	v_dual_add_f32 v12, v12, v20 :: v_dual_add_f32 v13, v13, v21
	v_dual_mul_f32 v22, 0x3f4a47b2, v28 :: v_dual_mul_f32 v23, 0x3f4a47b2, v29
	v_dual_mul_f32 v28, 0x3d64c772, v26 :: v_dual_mul_f32 v29, 0x3d64c772, v27
	;; [unrolled: 1-line block ×4, first 2 shown]
	v_dual_fmamk_f32 v20, v20, 0xbf955555, v12 :: v_dual_fmamk_f32 v21, v21, 0xbf955555, v13
	v_dual_fmamk_f32 v26, v26, 0x3d64c772, v22 :: v_dual_fmamk_f32 v27, v27, 0x3d64c772, v23
	v_fma_f32 v28, 0x3f3bfb3b, v30, -v28
	v_fma_f32 v29, 0x3f3bfb3b, v31, -v29
	v_fma_f32 v22, 0xbf3bfb3b, v30, -v22
	v_fma_f32 v23, 0xbf3bfb3b, v31, -v23
	v_dual_fmamk_f32 v37, v18, 0x3eae86e6, v33 :: v_dual_fmamk_f32 v38, v19, 0x3eae86e6, v34
	v_fma_f32 v16, 0x3f5ff5aa, v16, -v33
	v_fma_f32 v17, 0x3f5ff5aa, v17, -v34
	;; [unrolled: 1-line block ×4, first 2 shown]
	v_dual_add_f32 v35, v26, v20 :: v_dual_add_f32 v36, v27, v21
	v_dual_add_f32 v30, v28, v20 :: v_dual_add_f32 v31, v29, v21
	;; [unrolled: 1-line block ×3, first 2 shown]
	s_delay_alu instid0(VALU_DEP_4) | instskip(SKIP_2) | instid1(VALU_DEP_2)
	v_dual_fmac_f32 v16, 0x3ee1c552, v14 :: v_dual_fmac_f32 v19, 0x3ee1c552, v15
	v_dual_fmac_f32 v18, 0x3ee1c552, v14 :: v_dual_fmac_f32 v17, 0x3ee1c552, v15
	v_add_co_u32 v32, null, v84, 63
	v_dual_add_f32 v26, v19, v20 :: v_dual_sub_f32 v27, v21, v18
	s_delay_alu instid0(VALU_DEP_3)
	v_dual_sub_f32 v28, v30, v17 :: v_dual_add_f32 v29, v16, v31
	v_dual_add_f32 v30, v17, v30 :: v_dual_sub_f32 v31, v31, v16
	v_dual_sub_f32 v33, v20, v19 :: v_dual_add_f32 v34, v18, v21
	v_dual_add_f32 v16, v24, v2 :: v_dual_add_f32 v17, v25, v3
	v_dual_add_f32 v18, v10, v4 :: v_dual_add_f32 v19, v11, v5
	v_dual_sub_f32 v2, v2, v24 :: v_dual_sub_f32 v3, v3, v25
	v_dual_sub_f32 v4, v4, v10 :: v_dual_sub_f32 v5, v5, v11
	v_dual_add_f32 v10, v6, v8 :: v_dual_add_f32 v11, v7, v9
	v_dual_sub_f32 v6, v8, v6 :: v_dual_sub_f32 v7, v9, v7
	v_dual_add_f32 v8, v16, v18 :: v_dual_add_f32 v9, v17, v19
	v_dual_sub_f32 v20, v18, v16 :: v_dual_sub_f32 v21, v19, v17
	s_delay_alu instid0(VALU_DEP_4)
	v_dual_sub_f32 v16, v16, v10 :: v_dual_sub_f32 v17, v17, v11
	v_dual_sub_f32 v18, v10, v18 :: v_dual_sub_f32 v19, v11, v19
	v_dual_add_f32 v22, v4, v6 :: v_dual_add_f32 v23, v5, v7
	v_dual_sub_f32 v24, v6, v4 :: v_dual_sub_f32 v25, v7, v5
	v_dual_sub_f32 v4, v4, v2 :: v_dual_add_f32 v9, v9, v11
	v_dual_add_f32 v8, v8, v10 :: v_dual_sub_f32 v5, v5, v3
	v_dual_sub_f32 v6, v2, v6 :: v_dual_sub_f32 v7, v3, v7
	v_dual_add_f32 v10, v2, v22 :: v_dual_add_f32 v11, v3, v23
	s_delay_alu instid0(VALU_DEP_3)
	v_dual_add_f32 v0, v8, v0 :: v_dual_add_f32 v1, v9, v1
	v_dual_mul_f32 v2, 0x3f4a47b2, v16 :: v_dual_mul_f32 v3, 0x3f4a47b2, v17
	v_dual_mul_f32 v18, 0x3d64c772, v18 :: v_dual_mul_f32 v19, 0x3d64c772, v19
	;; [unrolled: 1-line block ×4, first 2 shown]
	v_dual_fmamk_f32 v8, v8, 0xbf955555, v0 :: v_dual_fmamk_f32 v9, v9, 0xbf955555, v1
	s_delay_alu instid0(VALU_DEP_4)
	v_dual_fmamk_f32 v16, v16, 0x3f4a47b2, v18 :: v_dual_fmamk_f32 v17, v17, 0x3f4a47b2, v19
	v_fma_f32 v18, 0x3f3bfb3b, v20, -v18
	v_fma_f32 v19, 0x3f3bfb3b, v21, -v19
	;; [unrolled: 1-line block ×4, first 2 shown]
	v_dual_fmamk_f32 v2, v6, 0x3eae86e6, v22 :: v_dual_fmamk_f32 v3, v7, 0x3eae86e6, v23
	v_fma_f32 v22, 0x3f5ff5aa, v4, -v22
	v_fma_f32 v23, 0x3f5ff5aa, v5, -v23
	;; [unrolled: 1-line block ×4, first 2 shown]
	v_dual_add_f32 v4, v16, v8 :: v_dual_add_f32 v5, v17, v9
	v_dual_add_f32 v24, v18, v8 :: v_dual_add_f32 v25, v19, v9
	;; [unrolled: 1-line block ×3, first 2 shown]
	s_delay_alu instid0(VALU_DEP_4) | instskip(SKIP_4) | instid1(VALU_DEP_4)
	v_dual_fmac_f32 v2, 0x3ee1c552, v10 :: v_dual_fmac_f32 v7, 0x3ee1c552, v11
	v_dual_fmac_f32 v6, 0x3ee1c552, v10 :: v_dual_fmac_f32 v23, 0x3ee1c552, v11
	;; [unrolled: 1-line block ×3, first 2 shown]
	v_mul_lo_u16 v10, v84, 7
	v_dual_fmac_f32 v37, 0x3ee1c552, v14 :: v_dual_fmac_f32 v38, 0x3ee1c552, v15
	v_dual_add_f32 v16, v8, v7 :: v_dual_sub_f32 v17, v9, v6
	s_delay_alu instid0(VALU_DEP_4)
	v_dual_sub_f32 v18, v24, v23 :: v_dual_add_f32 v19, v22, v25
	v_dual_add_f32 v20, v24, v23 :: v_dual_sub_f32 v21, v25, v22
	v_dual_sub_f32 v22, v8, v7 :: v_dual_and_b32 v7, 0xffff, v10
	v_dual_add_f32 v14, v35, v38 :: v_dual_sub_f32 v15, v36, v37
	v_add_f32_e32 v23, v6, v9
	v_dual_sub_f32 v79, v4, v3 :: v_dual_add_f32 v80, v2, v5
	s_delay_alu instid0(VALU_DEP_4)
	v_lshlrev_b32_e32 v88, 3, v7
	v_mul_u32_u24_e32 v85, 7, v32
	v_dual_sub_f32 v35, v35, v38 :: v_dual_add_f32 v36, v37, v36
	global_wb scope:SCOPE_SE
	s_wait_kmcnt 0x0
	s_barrier_signal -1
	s_barrier_wait -1
	global_inv scope:SCOPE_SE
	ds_store_2addr_b64 v88, v[12:13], v[14:15] offset1:1
	ds_store_2addr_b64 v88, v[26:27], v[28:29] offset0:2 offset1:3
	ds_store_2addr_b64 v88, v[30:31], v[33:34] offset0:4 offset1:5
	ds_store_b64 v88, v[35:36] offset:48
	s_and_saveexec_b32 s2, vcc_lo
	s_cbranch_execz .LBB0_7
; %bb.6:
	v_dual_sub_f32 v5, v5, v2 :: v_dual_add_f32 v4, v4, v3
	v_lshlrev_b32_e32 v2, 3, v85
	ds_store_2addr_b64 v2, v[0:1], v[4:5] offset1:1
	ds_store_2addr_b64 v2, v[16:17], v[18:19] offset0:2 offset1:3
	ds_store_2addr_b64 v2, v[20:21], v[22:23] offset0:4 offset1:5
	ds_store_b64 v2, v[79:80] offset:48
.LBB0_7:
	s_wait_alu 0xfffe
	s_or_b32 exec_lo, exec_lo, s2
	v_and_b32_e32 v0, 0xff, v84
	global_wb scope:SCOPE_SE
	s_wait_dscnt 0x0
	s_barrier_signal -1
	s_barrier_wait -1
	global_inv scope:SCOPE_SE
	v_mul_lo_u16 v0, v0, 37
	v_add_co_u32 v33, null, 0x7e, v84
	v_lshlrev_b32_e32 v32, 4, v32
	s_delay_alu instid0(VALU_DEP_3) | instskip(NEXT) | instid1(VALU_DEP_1)
	v_lshrrev_b16 v0, 8, v0
	v_sub_nc_u16 v1, v84, v0
	s_delay_alu instid0(VALU_DEP_1) | instskip(NEXT) | instid1(VALU_DEP_1)
	v_lshrrev_b16 v1, 1, v1
	v_and_b32_e32 v1, 0x7f, v1
	s_delay_alu instid0(VALU_DEP_1) | instskip(NEXT) | instid1(VALU_DEP_1)
	v_add_nc_u16 v0, v1, v0
	v_lshrrev_b16 v34, 2, v0
	s_delay_alu instid0(VALU_DEP_1) | instskip(NEXT) | instid1(VALU_DEP_1)
	v_mul_lo_u16 v0, v34, 7
	v_sub_nc_u16 v0, v84, v0
	s_delay_alu instid0(VALU_DEP_1) | instskip(NEXT) | instid1(VALU_DEP_1)
	v_and_b32_e32 v44, 0xff, v0
	v_lshlrev_b32_e32 v0, 6, v44
	s_clause 0x3
	global_load_b128 v[12:15], v0, s[0:1]
	global_load_b128 v[8:11], v0, s[0:1] offset:16
	global_load_b128 v[4:7], v0, s[0:1] offset:32
	;; [unrolled: 1-line block ×3, first 2 shown]
	v_and_b32_e32 v24, 0xff, v33
	v_and_b32_e32 v42, 0xffff, v34
	v_add_nc_u32_e32 v48, 0x800, v83
	s_delay_alu instid0(VALU_DEP_3) | instskip(NEXT) | instid1(VALU_DEP_3)
	v_mul_lo_u16 v24, v24, 5
	v_mul_u32_u24_e32 v45, 63, v42
	s_delay_alu instid0(VALU_DEP_2) | instskip(NEXT) | instid1(VALU_DEP_1)
	v_lshrrev_b16 v24, 8, v24
	v_sub_nc_u16 v25, v33, v24
	s_delay_alu instid0(VALU_DEP_1) | instskip(NEXT) | instid1(VALU_DEP_1)
	v_lshrrev_b16 v25, 1, v25
	v_and_b32_e32 v25, 0x7f, v25
	s_delay_alu instid0(VALU_DEP_1)
	v_add_nc_u16 v28, v25, v24
	ds_load_2addr_b64 v[24:27], v83 offset1:63
	v_add_nc_u32_e32 v49, 0x400, v83
	v_lshrrev_b16 v35, 5, v28
	ds_load_2addr_b64 v[28:31], v83 offset0:126 offset1:189
	v_mul_lo_u16 v43, v35, 63
	s_delay_alu instid0(VALU_DEP_1)
	v_sub_nc_u16 v46, v33, v43
	v_lshlrev_b32_e32 v33, 4, v33
	s_wait_loadcnt_dscnt 0x300
	v_mul_f32_e32 v47, v29, v15
	v_add_lshl_u32 v86, v45, v44, 3
	v_mul_f32_e32 v44, v27, v13
	ds_load_2addr_b64 v[34:37], v49 offset0:124 offset1:187
	ds_load_2addr_b64 v[38:41], v48 offset0:122 offset1:185
	ds_load_b64 v[42:43], v83 offset:4032
	v_dual_mul_f32 v45, v26, v13 :: v_dual_and_b32 v46, 0xff, v46
	s_wait_loadcnt 0x2
	v_mul_f32_e32 v51, v31, v9
	v_mul_f32_e32 v52, v30, v9
	v_lshlrev_b32_e32 v54, 4, v84
	v_dual_mul_f32 v50, v28, v15 :: v_dual_fmac_f32 v45, v27, v12
	v_fma_f32 v27, v28, v14, -v47
	v_fma_f32 v28, v30, v8, -v51
	v_fma_f32 v26, v26, v12, -v44
	global_wb scope:SCOPE_SE
	s_wait_loadcnt_dscnt 0x0
	s_barrier_signal -1
	s_barrier_wait -1
	global_inv scope:SCOPE_SE
	v_mul_f32_e32 v57, v36, v5
	v_mul_f32_e32 v59, v38, v7
	v_dual_mul_f32 v58, v39, v7 :: v_dual_mul_f32 v61, v40, v1
	s_delay_alu instid0(VALU_DEP_3) | instskip(SKIP_3) | instid1(VALU_DEP_4)
	v_dual_mul_f32 v82, v42, v3 :: v_dual_fmac_f32 v57, v37, v4
	v_mul_f32_e32 v53, v35, v11
	v_dual_mul_f32 v55, v34, v11 :: v_dual_mul_f32 v56, v37, v5
	v_dual_mul_f32 v60, v41, v1 :: v_dual_mul_f32 v81, v43, v3
	v_dual_fmac_f32 v82, v43, v2 :: v_dual_fmac_f32 v61, v41, v0
	v_fmac_f32_e32 v52, v31, v8
	v_fma_f32 v31, v38, v6, -v58
	v_fmac_f32_e32 v55, v35, v10
	s_delay_alu instid0(VALU_DEP_4)
	v_add_f32_e32 v37, v45, v82
	v_fma_f32 v30, v36, v4, -v56
	v_fma_f32 v35, v40, v0, -v60
	v_dual_fmac_f32 v59, v39, v6 :: v_dual_add_f32 v40, v28, v31
	v_fmac_f32_e32 v50, v29, v14
	v_fma_f32 v29, v34, v10, -v53
	v_fma_f32 v34, v42, v2, -v81
	s_delay_alu instid0(VALU_DEP_4) | instskip(NEXT) | instid1(VALU_DEP_4)
	v_add_f32_e32 v41, v52, v59
	v_dual_add_f32 v38, v27, v35 :: v_dual_add_f32 v39, v50, v61
	v_dual_sub_f32 v42, v45, v82 :: v_dual_sub_f32 v43, v50, v61
	s_delay_alu instid0(VALU_DEP_4) | instskip(SKIP_2) | instid1(VALU_DEP_3)
	v_dual_add_f32 v36, v26, v34 :: v_dual_sub_f32 v35, v27, v35
	v_sub_f32_e32 v34, v26, v34
	v_dual_sub_f32 v28, v28, v31 :: v_dual_sub_f32 v45, v55, v57
	v_dual_sub_f32 v44, v29, v30 :: v_dual_fmamk_f32 v53, v36, 0x3f441b7d, v24
	v_dual_add_f32 v47, v29, v30 :: v_dual_add_f32 v50, v55, v57
	v_sub_f32_e32 v31, v52, v59
	v_dual_mul_f32 v51, 0x3f248dbb, v34 :: v_dual_add_f32 v26, v40, v24
	v_dual_mul_f32 v52, 0x3f248dbb, v42 :: v_dual_add_f32 v27, v41, v25
	v_dual_fmamk_f32 v56, v37, 0x3f441b7d, v25 :: v_dual_add_f32 v81, v44, v34
	v_dual_mul_f32 v58, 0xbf248dbb, v44 :: v_dual_mul_f32 v59, 0xbf248dbb, v45
	v_dual_fmamk_f32 v60, v47, 0x3f441b7d, v24 :: v_dual_fmamk_f32 v61, v50, 0x3f441b7d, v25
	v_dual_add_f32 v82, v45, v42 :: v_dual_add_f32 v87, v38, v36
	v_dual_add_f32 v89, v39, v37 :: v_dual_mul_f32 v90, 0x3f7c1c5c, v44
	v_dual_mul_f32 v91, 0x3f7c1c5c, v45 :: v_dual_fmac_f32 v52, 0x3f7c1c5c, v43
	v_dual_fmamk_f32 v92, v38, 0x3f441b7d, v24 :: v_dual_fmamk_f32 v93, v39, 0x3f441b7d, v25
	v_dual_fmac_f32 v51, 0x3f7c1c5c, v35 :: v_dual_fmac_f32 v58, 0x3f7c1c5c, v34
	v_dual_fmac_f32 v53, 0x3e31d0d4, v38 :: v_dual_fmac_f32 v56, 0x3e31d0d4, v39
	v_dual_fmac_f32 v59, 0x3f7c1c5c, v42 :: v_dual_sub_f32 v82, v82, v43
	v_dual_fmac_f32 v60, 0x3e31d0d4, v36 :: v_dual_fmac_f32 v61, 0x3e31d0d4, v37
	v_dual_add_f32 v94, v47, v87 :: v_dual_add_f32 v95, v50, v89
	v_fma_f32 v90, 0xbf248dbb, v35, -v90
	v_fma_f32 v91, 0xbf248dbb, v43, -v91
	v_dual_add_f32 v87, v40, v87 :: v_dual_fmac_f32 v58, 0xbf5db3d7, v28
	v_dual_add_f32 v89, v41, v89 :: v_dual_fmac_f32 v92, 0x3e31d0d4, v47
	v_dual_fmac_f32 v93, 0x3e31d0d4, v50 :: v_dual_fmac_f32 v60, -0.5, v40
	v_dual_sub_f32 v81, v81, v35 :: v_dual_fmac_f32 v56, -0.5, v41
	v_dual_fmac_f32 v51, 0x3f5db3d7, v28 :: v_dual_fmac_f32 v52, 0x3f5db3d7, v31
	s_delay_alu instid0(VALU_DEP_2) | instskip(SKIP_4) | instid1(VALU_DEP_4)
	v_dual_fmac_f32 v53, -0.5, v40 :: v_dual_mul_f32 v96, 0x3f5db3d7, v81
	v_dual_fmac_f32 v59, 0xbf5db3d7, v31 :: v_dual_fmac_f32 v26, -0.5, v94
	v_dual_fmac_f32 v61, -0.5, v41 :: v_dual_fmac_f32 v90, 0x3f5db3d7, v28
	v_dual_mul_f32 v97, 0x3f5db3d7, v82 :: v_dual_add_f32 v28, v29, v87
	v_dual_fmac_f32 v27, -0.5, v95 :: v_dual_fmac_f32 v92, -0.5, v40
	v_dual_fmac_f32 v91, 0x3f5db3d7, v31 :: v_dual_fmac_f32 v26, 0x3f5db3d7, v82
	v_dual_add_f32 v29, v55, v89 :: v_dual_fmac_f32 v56, 0xbf708fb2, v50
	v_dual_fmac_f32 v93, -0.5, v41 :: v_dual_fmac_f32 v58, 0x3eaf1d44, v35
	v_dual_fmac_f32 v51, 0x3eaf1d44, v44 :: v_dual_fmac_f32 v52, 0x3eaf1d44, v45
	v_dual_fmac_f32 v53, 0xbf708fb2, v47 :: v_dual_fmac_f32 v60, 0xbf708fb2, v38
	;; [unrolled: 1-line block ×3, first 2 shown]
	v_dual_fmac_f32 v61, 0xbf708fb2, v39 :: v_dual_add_f32 v38, v30, v28
	s_delay_alu instid0(VALU_DEP_3) | instskip(SKIP_1) | instid1(VALU_DEP_3)
	v_dual_fmac_f32 v91, 0x3eaf1d44, v42 :: v_dual_add_f32 v28, v52, v53
	v_dual_add_f32 v39, v57, v29 :: v_dual_fmac_f32 v92, 0xbf708fb2, v36
	v_dual_fmac_f32 v93, 0xbf708fb2, v37 :: v_dual_add_f32 v24, v38, v24
	v_sub_f32_e32 v29, v56, v51
	v_dual_fmac_f32 v27, 0xbf5db3d7, v81 :: v_dual_add_f32 v30, v59, v60
	s_delay_alu instid0(VALU_DEP_3) | instskip(SKIP_3) | instid1(VALU_DEP_4)
	v_dual_add_f32 v36, v91, v92 :: v_dual_sub_f32 v37, v93, v90
	v_sub_f32_e32 v31, v61, v58
	v_add_f32_e32 v25, v39, v25
	v_fma_f32 v34, -2.0, v97, v26
	v_fma_f32 v42, -2.0, v91, v36
	v_fma_f32 v43, 2.0, v90, v37
	v_fma_f32 v35, 2.0, v96, v27
	v_fma_f32 v40, -2.0, v59, v30
	v_fma_f32 v41, 2.0, v58, v31
	v_fma_f32 v38, -2.0, v52, v28
	v_fma_f32 v39, 2.0, v51, v29
	ds_store_2addr_b64 v86, v[24:25], v[28:29] offset1:7
	ds_store_2addr_b64 v86, v[30:31], v[26:27] offset0:14 offset1:21
	ds_store_2addr_b64 v86, v[36:37], v[42:43] offset0:28 offset1:35
	;; [unrolled: 1-line block ×3, first 2 shown]
	ds_store_b64 v86, v[38:39] offset:448
	v_lshlrev_b32_e32 v24, 4, v46
	global_wb scope:SCOPE_SE
	s_wait_dscnt 0x0
	s_barrier_signal -1
	s_barrier_wait -1
	global_inv scope:SCOPE_SE
	s_clause 0x1
	global_load_b128 v[28:31], v54, s[0:1] offset:448
	global_load_b128 v[24:27], v24, s[0:1] offset:448
	ds_load_2addr_b64 v[34:37], v83 offset0:126 offset1:189
	ds_load_2addr_b64 v[38:41], v48 offset0:122 offset1:185
	;; [unrolled: 1-line block ×3, first 2 shown]
	v_lshlrev_b32_e32 v87, 3, v46
	ds_load_b64 v[46:47], v83 offset:4032
	ds_load_2addr_b64 v[50:53], v83 offset1:63
	global_wb scope:SCOPE_SE
	s_wait_loadcnt_dscnt 0x0
	s_barrier_signal -1
	s_barrier_wait -1
	global_inv scope:SCOPE_SE
	v_dual_mul_f32 v56, v37, v29 :: v_dual_mul_f32 v59, v38, v31
	v_dual_mul_f32 v90, v44, v25 :: v_dual_add_nc_u32 v55, 0x800, v87
	v_mul_f32_e32 v60, v43, v29
	v_dual_mul_f32 v57, v36, v29 :: v_dual_mul_f32 v92, v46, v27
	v_mul_f32_e32 v58, v39, v31
	v_mul_f32_e32 v81, v41, v31
	v_dual_mul_f32 v61, v42, v29 :: v_dual_mul_f32 v82, v40, v31
	v_dual_fmac_f32 v59, v39, v30 :: v_dual_fmac_f32 v90, v45, v24
	v_mul_f32_e32 v91, v47, v27
	v_fma_f32 v36, v36, v28, -v56
	s_delay_alu instid0(VALU_DEP_4) | instskip(NEXT) | instid1(VALU_DEP_4)
	v_fmac_f32_e32 v82, v41, v30
	v_dual_fmac_f32 v57, v37, v28 :: v_dual_add_f32 v94, v35, v90
	v_fma_f32 v37, v38, v30, -v58
	v_fma_f32 v38, v42, v28, -v60
	v_dual_mul_f32 v89, v45, v25 :: v_dual_fmac_f32 v92, v47, v26
	v_fma_f32 v40, v40, v30, -v81
	v_fmac_f32_e32 v61, v43, v28
	v_fma_f32 v42, v46, v26, -v91
	v_dual_add_f32 v46, v57, v59 :: v_dual_add_f32 v41, v50, v36
	s_delay_alu instid0(VALU_DEP_3)
	v_dual_add_f32 v43, v36, v37 :: v_dual_sub_f32 v58, v61, v82
	v_dual_sub_f32 v45, v57, v59 :: v_dual_add_f32 v56, v52, v38
	v_fma_f32 v39, v44, v24, -v89
	v_dual_add_f32 v44, v51, v57 :: v_dual_add_f32 v57, v38, v40
	v_add_f32_e32 v60, v53, v61
	v_add_f32_e32 v61, v61, v82
	v_sub_f32_e32 v81, v38, v40
	v_fma_f32 v38, -0.5, v43, v50
	v_fma_f32 v52, -0.5, v57, v52
	v_sub_f32_e32 v93, v90, v92
	v_dual_add_f32 v90, v90, v92 :: v_dual_add_f32 v91, v39, v42
	v_add_f32_e32 v89, v34, v39
	v_sub_f32_e32 v47, v36, v37
	v_sub_f32_e32 v95, v39, v42
	v_fma_f32 v39, -0.5, v46, v51
	v_fmamk_f32 v46, v58, 0x3f5db3d7, v52
	v_dual_add_f32 v40, v56, v40 :: v_dual_fmac_f32 v53, -0.5, v61
	v_dual_add_f32 v36, v41, v37 :: v_dual_fmac_f32 v35, -0.5, v90
	v_dual_fmac_f32 v52, 0xbf5db3d7, v58 :: v_dual_add_f32 v37, v44, v59
	v_fmamk_f32 v44, v45, 0x3f5db3d7, v38
	v_fmac_f32_e32 v38, 0xbf5db3d7, v45
	v_fma_f32 v34, -0.5, v91, v34
	v_dual_add_f32 v42, v89, v42 :: v_dual_fmamk_f32 v45, v47, 0xbf5db3d7, v39
	v_add_f32_e32 v41, v60, v82
	v_fmac_f32_e32 v39, 0x3f5db3d7, v47
	v_fmamk_f32 v47, v81, 0xbf5db3d7, v53
	v_fmac_f32_e32 v53, 0x3f5db3d7, v81
	v_dual_add_f32 v43, v94, v92 :: v_dual_fmamk_f32 v50, v93, 0x3f5db3d7, v34
	v_dual_fmamk_f32 v51, v95, 0xbf5db3d7, v35 :: v_dual_fmac_f32 v34, 0xbf5db3d7, v93
	v_fmac_f32_e32 v35, 0x3f5db3d7, v95
	ds_store_2addr_b64 v83, v[36:37], v[44:45] offset1:63
	ds_store_2addr_b64 v83, v[38:39], v[40:41] offset0:126 offset1:189
	ds_store_2addr_b64 v49, v[46:47], v[52:53] offset0:124 offset1:187
	;; [unrolled: 1-line block ×3, first 2 shown]
	ds_store_b64 v87, v[34:35] offset:4032
	global_wb scope:SCOPE_SE
	s_wait_dscnt 0x0
	s_barrier_signal -1
	s_barrier_wait -1
	global_inv scope:SCOPE_SE
	s_clause 0x2
	global_load_b128 v[40:43], v54, s[0:1] offset:1456
	global_load_b128 v[36:39], v32, s[0:1] offset:1456
	;; [unrolled: 1-line block ×3, first 2 shown]
	ds_load_2addr_b64 v[44:47], v83 offset0:126 offset1:189
	ds_load_2addr_b64 v[50:53], v48 offset0:122 offset1:185
	;; [unrolled: 1-line block ×3, first 2 shown]
	ds_load_b64 v[81:82], v83 offset:4032
	ds_load_2addr_b64 v[58:61], v83 offset1:63
	s_add_nc_u64 s[0:1], s[12:13], 0x11b8
	s_wait_loadcnt_dscnt 0x102
	v_mul_f32_e32 v94, v54, v37
	s_wait_loadcnt 0x0
	v_mul_f32_e32 v98, v56, v33
	v_mul_f32_e32 v89, v47, v41
	;; [unrolled: 1-line block ×3, first 2 shown]
	s_wait_dscnt 0x1
	v_mul_f32_e32 v100, v81, v35
	v_dual_mul_f32 v91, v51, v43 :: v_dual_fmac_f32 v98, v57, v32
	v_fma_f32 v46, v46, v40, -v89
	v_dual_mul_f32 v93, v55, v37 :: v_dual_mul_f32 v92, v50, v43
	v_mul_f32_e32 v96, v52, v39
	v_fmac_f32_e32 v90, v47, v40
	v_fmac_f32_e32 v100, v82, v34
	v_fma_f32 v47, v50, v42, -v91
	v_mul_f32_e32 v97, v57, v33
	v_fma_f32 v50, v54, v36, -v93
	v_mul_f32_e32 v95, v53, v39
	v_dual_mul_f32 v99, v82, v35 :: v_dual_fmac_f32 v92, v51, v42
	v_fmac_f32_e32 v94, v55, v36
	v_dual_fmac_f32 v96, v53, v38 :: v_dual_add_f32 v53, v46, v47
	s_wait_dscnt 0x0
	v_add_f32_e32 v82, v60, v50
	v_fma_f32 v54, v52, v38, -v95
	v_add_f32_e32 v52, v58, v46
	v_sub_f32_e32 v46, v46, v47
	v_fma_f32 v51, v56, v32, -v97
	v_fma_f32 v56, v81, v34, -v99
	v_sub_f32_e32 v81, v90, v92
	v_add_f32_e32 v55, v59, v90
	v_add_f32_e32 v57, v90, v92
	v_dual_sub_f32 v90, v94, v96 :: v_dual_add_f32 v91, v61, v94
	v_add_f32_e32 v93, v94, v96
	v_dual_sub_f32 v94, v50, v54 :: v_dual_add_f32 v95, v44, v51
	v_add_f32_e32 v89, v50, v54
	v_dual_add_f32 v97, v51, v56 :: v_dual_add_f32 v54, v82, v54
	v_sub_f32_e32 v102, v51, v56
	v_add_f32_e32 v50, v52, v47
	v_add_f32_e32 v56, v95, v56
	v_fma_f32 v52, -0.5, v53, v58
	v_sub_f32_e32 v99, v98, v100
	v_fma_f32 v44, -0.5, v97, v44
	s_delay_alu instid0(VALU_DEP_3) | instskip(SKIP_3) | instid1(VALU_DEP_3)
	v_dual_add_f32 v51, v55, v92 :: v_dual_fmamk_f32 v58, v81, 0x3f5db3d7, v52
	v_fma_f32 v53, -0.5, v57, v59
	v_fmac_f32_e32 v52, 0xbf5db3d7, v81
	v_fma_f32 v60, -0.5, v89, v60
	v_fmamk_f32 v59, v46, 0xbf5db3d7, v53
	v_fmac_f32_e32 v53, 0x3f5db3d7, v46
	s_delay_alu instid0(VALU_DEP_3) | instskip(SKIP_3) | instid1(VALU_DEP_3)
	v_fmamk_f32 v81, v90, 0x3f5db3d7, v60
	v_dual_fmac_f32 v60, 0xbf5db3d7, v90 :: v_dual_fmac_f32 v61, -0.5, v93
	v_dual_fmamk_f32 v46, v99, 0x3f5db3d7, v44 :: v_dual_add_f32 v101, v45, v98
	v_add_f32_e32 v98, v98, v100
	v_dual_add_f32 v55, v91, v96 :: v_dual_fmamk_f32 v82, v94, 0xbf5db3d7, v61
	v_fmac_f32_e32 v61, 0x3f5db3d7, v94
	s_delay_alu instid0(VALU_DEP_4) | instskip(NEXT) | instid1(VALU_DEP_4)
	v_add_f32_e32 v57, v101, v100
	v_dual_fmac_f32 v45, -0.5, v98 :: v_dual_fmac_f32 v44, 0xbf5db3d7, v99
	s_delay_alu instid0(VALU_DEP_1)
	v_fmamk_f32 v47, v102, 0xbf5db3d7, v45
	v_fmac_f32_e32 v45, 0x3f5db3d7, v102
	ds_store_b64 v83, v[58:59] offset:1512
	ds_store_b64 v83, v[52:53] offset:3024
	ds_store_2addr_b64 v83, v[50:51], v[54:55] offset1:63
	ds_store_b64 v83, v[60:61] offset:3528
	ds_store_b64 v83, v[56:57] offset:1008
	ds_store_2addr_b64 v49, v[81:82], v[46:47] offset0:124 offset1:187
	ds_store_b64 v83, v[44:45] offset:4032
	global_wb scope:SCOPE_SE
	s_wait_dscnt 0x0
	s_barrier_signal -1
	s_barrier_wait -1
	global_inv scope:SCOPE_SE
	s_clause 0x6
	global_load_b64 v[54:55], v[62:63], off offset:4536
	global_load_b64 v[56:57], v83, s[0:1] offset:648
	global_load_b64 v[58:59], v83, s[0:1] offset:1296
	;; [unrolled: 1-line block ×6, first 2 shown]
	ds_load_2addr_b64 v[50:53], v83 offset1:81
	s_wait_loadcnt_dscnt 0x600
	v_mul_f32_e32 v93, v51, v55
	s_wait_loadcnt 0x5
	v_dual_mul_f32 v94, v50, v55 :: v_dual_mul_f32 v95, v53, v57
	v_mul_f32_e32 v55, v52, v57
	s_delay_alu instid0(VALU_DEP_3) | instskip(NEXT) | instid1(VALU_DEP_3)
	v_fma_f32 v93, v50, v54, -v93
	v_fmac_f32_e32 v94, v51, v54
	s_delay_alu instid0(VALU_DEP_4) | instskip(NEXT) | instid1(VALU_DEP_4)
	v_fma_f32 v54, v52, v56, -v95
	v_fmac_f32_e32 v55, v53, v56
	ds_store_2addr_b64 v83, v[93:94], v[54:55] offset1:81
	ds_load_2addr_b64 v[50:53], v83 offset0:162 offset1:243
	ds_load_2addr_b64 v[54:57], v48 offset0:68 offset1:149
	ds_load_b64 v[93:94], v83 offset:3888
	s_wait_loadcnt_dscnt 0x402
	v_mul_f32_e32 v95, v51, v59
	s_wait_loadcnt 0x3
	v_dual_mul_f32 v96, v50, v59 :: v_dual_mul_f32 v97, v53, v61
	s_wait_loadcnt_dscnt 0x201
	v_dual_mul_f32 v59, v52, v61 :: v_dual_mul_f32 v98, v55, v82
	v_mul_f32_e32 v61, v54, v82
	s_wait_loadcnt 0x1
	v_mul_f32_e32 v99, v57, v90
	v_mul_f32_e32 v82, v56, v90
	s_wait_loadcnt_dscnt 0x0
	v_mul_f32_e32 v100, v94, v92
	v_mul_f32_e32 v90, v93, v92
	v_fma_f32 v95, v50, v58, -v95
	v_fmac_f32_e32 v96, v51, v58
	v_fma_f32 v58, v52, v60, -v97
	s_delay_alu instid0(VALU_DEP_4)
	v_dual_fmac_f32 v59, v53, v60 :: v_dual_fmac_f32 v90, v94, v91
	v_fma_f32 v60, v54, v81, -v98
	v_fmac_f32_e32 v61, v55, v81
	v_fma_f32 v81, v56, v89, -v99
	v_fmac_f32_e32 v82, v57, v89
	v_fma_f32 v89, v93, v91, -v100
	ds_store_2addr_b64 v83, v[95:96], v[58:59] offset0:162 offset1:243
	ds_store_2addr_b64 v48, v[60:61], v[81:82] offset0:68 offset1:149
	ds_store_b64 v83, v[89:90] offset:3888
	s_and_saveexec_b32 s2, vcc_lo
	s_cbranch_execz .LBB0_9
; %bb.8:
	s_wait_alu 0xfffe
	v_add_co_u32 v50, s0, s0, v83
	s_wait_alu 0xf1ff
	v_add_co_ci_u32_e64 v51, null, s1, 0, s0
	s_clause 0x6
	global_load_b64 v[81:82], v[50:51], off offset:504
	global_load_b64 v[89:90], v[50:51], off offset:1152
	;; [unrolled: 1-line block ×7, first 2 shown]
	ds_load_2addr_b64 v[50:53], v83 offset0:63 offset1:144
	ds_load_2addr_b64 v[54:57], v49 offset0:97 offset1:178
	;; [unrolled: 1-line block ×3, first 2 shown]
	ds_load_b64 v[101:102], v83 offset:4392
	s_wait_loadcnt_dscnt 0x603
	v_mul_f32_e32 v103, v51, v82
	v_mul_f32_e32 v104, v50, v82
	s_wait_loadcnt_dscnt 0x402
	v_dual_mul_f32 v105, v53, v90 :: v_dual_mul_f32 v106, v55, v92
	v_mul_f32_e32 v82, v52, v90
	s_wait_loadcnt 0x3
	v_dual_mul_f32 v90, v54, v92 :: v_dual_mul_f32 v107, v57, v94
	s_wait_loadcnt_dscnt 0x201
	v_mul_f32_e32 v108, v59, v96
	v_mul_f32_e32 v92, v56, v94
	s_wait_loadcnt 0x1
	v_dual_mul_f32 v94, v58, v96 :: v_dual_mul_f32 v109, v61, v98
	v_mul_f32_e32 v96, v60, v98
	s_wait_loadcnt_dscnt 0x0
	v_mul_f32_e32 v110, v102, v100
	v_mul_f32_e32 v98, v101, v100
	v_fma_f32 v103, v50, v81, -v103
	v_fmac_f32_e32 v104, v51, v81
	v_fma_f32 v81, v52, v89, -v105
	v_fmac_f32_e32 v82, v53, v89
	;; [unrolled: 2-line block ×7, first 2 shown]
	ds_store_2addr_b64 v83, v[103:104], v[81:82] offset0:63 offset1:144
	ds_store_2addr_b64 v49, v[89:90], v[91:92] offset0:97 offset1:178
	;; [unrolled: 1-line block ×3, first 2 shown]
	ds_store_b64 v83, v[97:98] offset:4392
.LBB0_9:
	s_wait_alu 0xfffe
	s_or_b32 exec_lo, exec_lo, s2
	global_wb scope:SCOPE_SE
	s_wait_dscnt 0x0
	s_barrier_signal -1
	s_barrier_wait -1
	global_inv scope:SCOPE_SE
	ds_load_2addr_b64 v[50:53], v83 offset1:81
	ds_load_2addr_b64 v[54:57], v83 offset0:162 offset1:243
	ds_load_2addr_b64 v[58:61], v48 offset0:68 offset1:149
	ds_load_b64 v[81:82], v83 offset:3888
	s_and_saveexec_b32 s0, vcc_lo
	s_cbranch_execz .LBB0_11
; %bb.10:
	ds_load_2addr_b64 v[46:49], v83 offset0:63 offset1:144
	v_add_nc_u32_e32 v16, 0x400, v83
	s_wait_dscnt 0x0
	v_dual_mov_b32 v45, v49 :: v_dual_add_nc_u32 v20, 0x800, v83
	ds_load_b64 v[79:80], v83 offset:4392
	ds_load_2addr_b64 v[16:19], v16 offset0:97 offset1:178
	ds_load_2addr_b64 v[20:23], v20 offset0:131 offset1:212
	v_mov_b32_e32 v44, v48
.LBB0_11:
	s_wait_alu 0xfffe
	s_or_b32 exec_lo, exec_lo, s0
	s_wait_dscnt 0x0
	v_dual_add_f32 v48, v52, v81 :: v_dual_add_f32 v49, v53, v82
	v_dual_sub_f32 v52, v52, v81 :: v_dual_sub_f32 v53, v53, v82
	v_dual_add_f32 v81, v54, v60 :: v_dual_add_f32 v82, v55, v61
	v_dual_sub_f32 v54, v54, v60 :: v_dual_sub_f32 v55, v55, v61
	;; [unrolled: 2-line block ×3, first 2 shown]
	s_delay_alu instid0(VALU_DEP_4) | instskip(SKIP_1) | instid1(VALU_DEP_4)
	v_dual_add_f32 v58, v81, v48 :: v_dual_add_f32 v59, v82, v49
	v_dual_sub_f32 v89, v81, v48 :: v_dual_sub_f32 v90, v82, v49
	v_dual_sub_f32 v91, v48, v60 :: v_dual_sub_f32 v92, v49, v61
	;; [unrolled: 1-line block ×3, first 2 shown]
	v_dual_add_f32 v48, v56, v54 :: v_dual_add_f32 v49, v57, v55
	v_dual_sub_f32 v93, v56, v54 :: v_dual_sub_f32 v94, v57, v55
	v_dual_sub_f32 v54, v54, v52 :: v_dual_add_f32 v59, v61, v59
	v_dual_add_f32 v58, v60, v58 :: v_dual_sub_f32 v55, v55, v53
	v_dual_sub_f32 v56, v52, v56 :: v_dual_sub_f32 v57, v53, v57
	v_dual_add_f32 v52, v48, v52 :: v_dual_add_f32 v53, v49, v53
	s_delay_alu instid0(VALU_DEP_3)
	v_dual_add_f32 v48, v50, v58 :: v_dual_add_f32 v49, v51, v59
	v_dual_mul_f32 v50, 0x3f4a47b2, v91 :: v_dual_mul_f32 v51, 0x3f4a47b2, v92
	v_dual_mul_f32 v60, 0x3d64c772, v81 :: v_dual_mul_f32 v61, 0x3d64c772, v82
	;; [unrolled: 1-line block ×4, first 2 shown]
	v_dual_fmamk_f32 v58, v58, 0xbf955555, v48 :: v_dual_fmamk_f32 v59, v59, 0xbf955555, v49
	v_dual_fmamk_f32 v81, v81, 0x3d64c772, v50 :: v_dual_fmamk_f32 v82, v82, 0x3d64c772, v51
	v_fma_f32 v60, 0x3f3bfb3b, v89, -v60
	v_fma_f32 v61, 0x3f3bfb3b, v90, -v61
	;; [unrolled: 1-line block ×4, first 2 shown]
	v_dual_fmamk_f32 v89, v56, 0xbeae86e6, v91 :: v_dual_fmamk_f32 v90, v57, 0xbeae86e6, v92
	v_fma_f32 v91, 0xbf5ff5aa, v54, -v91
	v_fma_f32 v92, 0xbf5ff5aa, v55, -v92
	;; [unrolled: 1-line block ×4, first 2 shown]
	v_dual_add_f32 v81, v81, v58 :: v_dual_add_f32 v82, v82, v59
	v_dual_fmac_f32 v89, 0xbee1c552, v52 :: v_dual_fmac_f32 v90, 0xbee1c552, v53
	v_dual_add_f32 v56, v60, v58 :: v_dual_add_f32 v57, v61, v59
	v_dual_add_f32 v58, v50, v58 :: v_dual_add_f32 v59, v51, v59
	v_dual_fmac_f32 v91, 0xbee1c552, v52 :: v_dual_fmac_f32 v94, 0xbee1c552, v53
	v_dual_fmac_f32 v93, 0xbee1c552, v52 :: v_dual_fmac_f32 v92, 0xbee1c552, v53
	v_dual_add_f32 v50, v81, v90 :: v_dual_sub_f32 v51, v82, v89
	s_delay_alu instid0(VALU_DEP_2) | instskip(NEXT) | instid1(VALU_DEP_3)
	v_dual_add_f32 v52, v94, v58 :: v_dual_sub_f32 v53, v59, v93
	v_dual_sub_f32 v54, v56, v92 :: v_dual_add_f32 v55, v91, v57
	v_dual_add_f32 v56, v92, v56 :: v_dual_sub_f32 v57, v57, v91
	v_dual_sub_f32 v58, v58, v94 :: v_dual_add_f32 v59, v93, v59
	v_sub_f32_e32 v60, v81, v90
	v_add_f32_e32 v61, v89, v82
	global_wb scope:SCOPE_SE
	s_barrier_signal -1
	s_barrier_wait -1
	global_inv scope:SCOPE_SE
	ds_store_2addr_b64 v88, v[48:49], v[50:51] offset1:1
	ds_store_2addr_b64 v88, v[52:53], v[54:55] offset0:2 offset1:3
	ds_store_2addr_b64 v88, v[56:57], v[58:59] offset0:4 offset1:5
	ds_store_b64 v88, v[60:61] offset:48
	s_and_saveexec_b32 s0, vcc_lo
	s_cbranch_execz .LBB0_13
; %bb.12:
	v_sub_f32_e32 v48, v20, v18
	v_dual_sub_f32 v49, v16, v22 :: v_dual_add_f32 v52, v19, v21
	v_add_f32_e32 v51, v80, v45
	v_add_f32_e32 v54, v23, v17
	s_delay_alu instid0(VALU_DEP_3) | instskip(SKIP_2) | instid1(VALU_DEP_3)
	v_dual_add_f32 v20, v18, v20 :: v_dual_sub_f32 v53, v48, v49
	v_sub_f32_e32 v19, v21, v19
	v_sub_f32_e32 v21, v17, v23
	v_dual_mul_f32 v53, 0x3f08b237, v53 :: v_dual_sub_f32 v50, v44, v79
	v_add_f32_e32 v44, v79, v44
	v_sub_f32_e32 v18, v51, v52
	s_delay_alu instid0(VALU_DEP_3) | instskip(NEXT) | instid1(VALU_DEP_3)
	v_dual_sub_f32 v55, v50, v48 :: v_dual_add_f32 v48, v48, v49
	v_dual_add_f32 v56, v54, v51 :: v_dual_sub_f32 v59, v44, v20
	v_sub_f32_e32 v51, v54, v51
	s_delay_alu instid0(VALU_DEP_3) | instskip(NEXT) | instid1(VALU_DEP_3)
	v_dual_fmamk_f32 v57, v55, 0xbeae86e6, v53 :: v_dual_add_f32 v48, v48, v50
	v_dual_add_f32 v56, v52, v56 :: v_dual_mul_f32 v23, 0x3f4a47b2, v59
	v_sub_f32_e32 v45, v45, v80
	v_add_f32_e32 v16, v22, v16
	s_delay_alu instid0(VALU_DEP_4) | instskip(SKIP_2) | instid1(VALU_DEP_4)
	v_dual_sub_f32 v22, v52, v54 :: v_dual_fmac_f32 v57, 0xbee1c552, v48
	v_mul_f32_e32 v52, 0x3f4a47b2, v18
	v_dual_add_f32 v18, v47, v56 :: v_dual_sub_f32 v49, v49, v50
	v_add_f32_e32 v47, v16, v44
	s_delay_alu instid0(VALU_DEP_1) | instskip(NEXT) | instid1(VALU_DEP_1)
	v_add_f32_e32 v47, v20, v47
	v_add_f32_e32 v17, v46, v47
	s_delay_alu instid0(VALU_DEP_1)
	v_fmamk_f32 v46, v47, 0xbf955555, v17
	v_dual_fmamk_f32 v56, v56, 0xbf955555, v18 :: v_dual_sub_f32 v47, v45, v19
	v_dual_mul_f32 v58, 0x3d64c772, v22 :: v_dual_sub_f32 v59, v20, v16
	v_fmamk_f32 v22, v22, 0x3d64c772, v52
	v_sub_f32_e32 v20, v19, v21
	v_add_f32_e32 v19, v19, v21
	s_delay_alu instid0(VALU_DEP_2) | instskip(NEXT) | instid1(VALU_DEP_4)
	v_mul_f32_e32 v61, 0x3f08b237, v20
	v_add_f32_e32 v60, v22, v56
	v_fmamk_f32 v22, v59, 0x3d64c772, v23
	v_dual_mul_f32 v50, 0x3d64c772, v59 :: v_dual_sub_f32 v21, v21, v45
	v_dual_sub_f32 v16, v16, v44 :: v_dual_add_f32 v19, v19, v45
	s_delay_alu instid0(VALU_DEP_3) | instskip(NEXT) | instid1(VALU_DEP_3)
	v_add_f32_e32 v59, v22, v46
	v_mul_f32_e32 v45, 0xbf5ff5aa, v21
	s_delay_alu instid0(VALU_DEP_3) | instskip(SKIP_2) | instid1(VALU_DEP_4)
	v_fma_f32 v23, 0xbf3bfb3b, v16, -v23
	v_mul_f32_e32 v22, 0xbf5ff5aa, v49
	v_fma_f32 v16, 0x3f3bfb3b, v16, -v50
	v_fma_f32 v54, 0x3eae86e6, v47, -v45
	s_delay_alu instid0(VALU_DEP_4) | instskip(NEXT) | instid1(VALU_DEP_4)
	v_add_f32_e32 v23, v23, v46
	v_fma_f32 v44, 0x3eae86e6, v55, -v22
	v_fma_f32 v22, 0xbf3bfb3b, v51, -v52
	v_dual_add_f32 v16, v16, v46 :: v_dual_fmamk_f32 v79, v47, 0xbeae86e6, v61
	v_add_f32_e32 v20, v57, v60
	v_fma_f32 v47, 0xbf5ff5aa, v49, -v53
	v_fma_f32 v53, 0xbf5ff5aa, v21, -v61
	v_add_f32_e32 v52, v22, v56
	v_fma_f32 v22, 0x3f3bfb3b, v51, -v58
	v_dual_fmac_f32 v79, 0xbee1c552, v19 :: v_dual_fmac_f32 v44, 0xbee1c552, v48
	v_fmac_f32_e32 v54, 0xbee1c552, v19
	v_fmac_f32_e32 v53, 0xbee1c552, v19
	s_delay_alu instid0(VALU_DEP_4) | instskip(SKIP_1) | instid1(VALU_DEP_4)
	v_add_f32_e32 v49, v22, v56
	v_fmac_f32_e32 v47, 0xbee1c552, v48
	v_dual_add_f32 v22, v44, v52 :: v_dual_sub_f32 v21, v23, v54
	s_delay_alu instid0(VALU_DEP_4) | instskip(SKIP_1) | instid1(VALU_DEP_4)
	v_sub_f32_e32 v46, v16, v53
	v_sub_f32_e32 v51, v60, v57
	;; [unrolled: 1-line block ×3, first 2 shown]
	v_dual_add_f32 v47, v47, v49 :: v_dual_add_f32 v48, v54, v23
	v_dual_sub_f32 v49, v52, v44 :: v_dual_add_f32 v50, v59, v79
	v_lshlrev_b32_e32 v52, 3, v85
	v_dual_add_f32 v44, v53, v16 :: v_dual_sub_f32 v19, v59, v79
	ds_store_2addr_b64 v52, v[17:18], v[50:51] offset1:1
	ds_store_2addr_b64 v52, v[48:49], v[46:47] offset0:2 offset1:3
	ds_store_2addr_b64 v52, v[44:45], v[21:22] offset0:4 offset1:5
	ds_store_b64 v52, v[19:20] offset:48
.LBB0_13:
	s_wait_alu 0xfffe
	s_or_b32 exec_lo, exec_lo, s0
	global_wb scope:SCOPE_SE
	s_wait_dscnt 0x0
	s_barrier_signal -1
	s_barrier_wait -1
	global_inv scope:SCOPE_SE
	ds_load_2addr_b64 v[18:21], v83 offset1:63
	ds_load_2addr_b64 v[44:47], v83 offset0:126 offset1:189
	v_add_nc_u32_e32 v16, 0x400, v83
	v_add_nc_u32_e32 v17, 0x800, v83
	s_mov_b32 s2, 0x8eac7900
	s_mov_b32 s3, 0x3f5ce55c
	s_wait_dscnt 0x1
	v_mul_f32_e32 v56, v13, v21
	v_mul_f32_e32 v13, v13, v20
	ds_load_2addr_b64 v[48:51], v16 offset0:124 offset1:187
	ds_load_2addr_b64 v[52:55], v17 offset0:122 offset1:185
	ds_load_b64 v[22:23], v83 offset:4032
	s_wait_dscnt 0x3
	v_dual_mul_f32 v57, v15, v45 :: v_dual_mul_f32 v58, v9, v47
	v_mul_f32_e32 v15, v15, v44
	v_dual_mul_f32 v9, v9, v46 :: v_dual_fmac_f32 v56, v12, v20
	v_fma_f32 v12, v12, v21, -v13
	s_delay_alu instid0(VALU_DEP_4) | instskip(NEXT) | instid1(VALU_DEP_4)
	v_dual_fmac_f32 v57, v14, v44 :: v_dual_fmac_f32 v58, v8, v46
	v_fma_f32 v13, v14, v45, -v15
	s_delay_alu instid0(VALU_DEP_4)
	v_fma_f32 v8, v8, v47, -v9
	global_wb scope:SCOPE_SE
	s_wait_dscnt 0x0
	s_barrier_signal -1
	s_barrier_wait -1
	global_inv scope:SCOPE_SE
	v_mul_f32_e32 v14, v11, v49
	v_mul_f32_e32 v9, v11, v48
	;; [unrolled: 1-line block ×3, first 2 shown]
	s_delay_alu instid0(VALU_DEP_3) | instskip(NEXT) | instid1(VALU_DEP_2)
	v_dual_mul_f32 v5, v5, v50 :: v_dual_fmac_f32 v14, v10, v48
	v_fmac_f32_e32 v11, v4, v50
	s_delay_alu instid0(VALU_DEP_2) | instskip(SKIP_2) | instid1(VALU_DEP_2)
	v_fma_f32 v20, v4, v51, -v5
	v_mul_f32_e32 v4, v3, v23
	v_mul_f32_e32 v3, v3, v22
	v_fmac_f32_e32 v4, v2, v22
	s_delay_alu instid0(VALU_DEP_2) | instskip(SKIP_2) | instid1(VALU_DEP_4)
	v_fma_f32 v2, v2, v23, -v3
	v_mul_f32_e32 v15, v7, v53
	v_fma_f32 v10, v10, v49, -v9
	v_add_f32_e32 v22, v56, v4
	s_delay_alu instid0(VALU_DEP_4) | instskip(SKIP_3) | instid1(VALU_DEP_4)
	v_sub_f32_e32 v23, v12, v2
	v_mul_f32_e32 v5, v7, v52
	v_dual_fmac_f32 v15, v6, v52 :: v_dual_add_f32 v12, v12, v2
	v_sub_f32_e32 v50, v10, v20
	v_mul_f32_e32 v2, 0x3f248dbb, v23
	s_delay_alu instid0(VALU_DEP_4) | instskip(SKIP_3) | instid1(VALU_DEP_4)
	v_fma_f32 v5, v6, v53, -v5
	v_mul_f32_e32 v7, v1, v55
	v_mul_f32_e32 v1, v1, v54
	v_dual_sub_f32 v47, v58, v15 :: v_dual_mul_f32 v6, 0xbf248dbb, v50
	v_sub_f32_e32 v48, v8, v5
	s_delay_alu instid0(VALU_DEP_4) | instskip(NEXT) | instid1(VALU_DEP_4)
	v_fmac_f32_e32 v7, v0, v54
	v_fma_f32 v0, v0, v55, -v1
	s_delay_alu instid0(VALU_DEP_1) | instskip(SKIP_1) | instid1(VALU_DEP_4)
	v_sub_f32_e32 v45, v13, v0
	v_dual_add_f32 v13, v13, v0 :: v_dual_fmamk_f32 v0, v22, 0x3f441b7d, v18
	v_sub_f32_e32 v44, v57, v7
	v_add_f32_e32 v52, v14, v11
	v_dual_add_f32 v46, v57, v7 :: v_dual_sub_f32 v21, v56, v4
	v_dual_add_f32 v15, v58, v15 :: v_dual_fmac_f32 v2, 0x3f7c1c5c, v45
	s_delay_alu instid0(VALU_DEP_3) | instskip(NEXT) | instid1(VALU_DEP_3)
	v_fmamk_f32 v4, v52, 0x3f441b7d, v18
	v_fmac_f32_e32 v0, 0x3e31d0d4, v46
	s_delay_alu instid0(VALU_DEP_4)
	v_mul_f32_e32 v3, 0x3f248dbb, v21
	v_add_f32_e32 v53, v10, v20
	v_fmac_f32_e32 v2, 0x3f5db3d7, v48
	v_fmac_f32_e32 v4, 0x3e31d0d4, v22
	v_fmamk_f32 v1, v12, 0x3f441b7d, v19
	v_dual_fmac_f32 v3, 0x3f7c1c5c, v44 :: v_dual_fmac_f32 v0, -0.5, v15
	v_sub_f32_e32 v49, v14, v11
	v_dual_add_f32 v51, v8, v5 :: v_dual_fmac_f32 v6, 0x3f7c1c5c, v23
	s_delay_alu instid0(VALU_DEP_4)
	v_dual_fmac_f32 v4, -0.5, v15 :: v_dual_fmac_f32 v1, 0x3e31d0d4, v13
	v_dual_add_f32 v54, v46, v22 :: v_dual_fmamk_f32 v5, v53, 0x3f441b7d, v19
	v_fmac_f32_e32 v2, 0x3eaf1d44, v50
	v_fmac_f32_e32 v0, 0xbf708fb2, v52
	;; [unrolled: 1-line block ×3, first 2 shown]
	v_dual_fmac_f32 v1, -0.5, v51 :: v_dual_fmac_f32 v6, 0xbf5db3d7, v48
	v_add_f32_e32 v8, v49, v21
	v_dual_add_f32 v58, v52, v54 :: v_dual_fmac_f32 v5, 0x3e31d0d4, v12
	v_mul_f32_e32 v7, 0xbf248dbb, v49
	s_delay_alu instid0(VALU_DEP_4) | instskip(NEXT) | instid1(VALU_DEP_3)
	v_dual_fmac_f32 v1, 0xbf708fb2, v53 :: v_dual_fmac_f32 v4, 0xbf708fb2, v46
	v_dual_sub_f32 v0, v0, v2 :: v_dual_fmac_f32 v5, -0.5, v51
	v_fmac_f32_e32 v6, 0x3eaf1d44, v45
	v_fmac_f32_e32 v3, 0x3eaf1d44, v49
	v_dual_sub_f32 v55, v8, v44 :: v_dual_fmamk_f32 v46, v46, 0x3f441b7d, v18
	v_dual_add_f32 v8, v15, v18 :: v_dual_fmac_f32 v7, 0x3f7c1c5c, v21
	s_delay_alu instid0(VALU_DEP_3) | instskip(NEXT) | instid1(VALU_DEP_2)
	v_dual_sub_f32 v4, v4, v6 :: v_dual_add_f32 v1, v3, v1
	v_dual_mul_f32 v49, 0x3f7c1c5c, v49 :: v_dual_fmac_f32 v8, -0.5, v58
	v_dual_add_f32 v9, v50, v23 :: v_dual_mul_f32 v50, 0x3f7c1c5c, v50
	s_delay_alu instid0(VALU_DEP_4) | instskip(SKIP_2) | instid1(VALU_DEP_4)
	v_fmac_f32_e32 v7, 0xbf5db3d7, v47
	v_fmac_f32_e32 v46, 0x3e31d0d4, v52
	;; [unrolled: 1-line block ×3, first 2 shown]
	v_dual_sub_f32 v56, v9, v45 :: v_dual_add_f32 v9, v51, v19
	v_fma_f32 v45, 0xbf248dbb, v45, -v50
	v_add_f32_e32 v57, v13, v12
	v_fmac_f32_e32 v7, 0x3eaf1d44, v44
	v_fma_f32 v44, 0xbf248dbb, v44, -v49
	s_delay_alu instid0(VALU_DEP_4) | instskip(SKIP_2) | instid1(VALU_DEP_4)
	v_dual_fmac_f32 v46, -0.5, v15 :: v_dual_fmac_f32 v45, 0x3f5db3d7, v48
	v_mul_f32_e32 v58, 0x3f5db3d7, v56
	v_fmac_f32_e32 v8, 0xbf5db3d7, v56
	v_dual_fmac_f32 v44, 0x3f5db3d7, v47 :: v_dual_add_f32 v47, v51, v57
	s_delay_alu instid0(VALU_DEP_4)
	v_fmac_f32_e32 v46, 0xbf708fb2, v22
	v_fmac_f32_e32 v45, 0x3eaf1d44, v23
	v_fmamk_f32 v13, v13, 0x3f441b7d, v19
	v_add_f32_e32 v60, v53, v57
	v_dual_fmac_f32 v44, 0x3eaf1d44, v21 :: v_dual_add_f32 v21, v15, v54
	v_mul_f32_e32 v59, 0x3f5db3d7, v55
	s_delay_alu instid0(VALU_DEP_4) | instskip(NEXT) | instid1(VALU_DEP_4)
	v_fmac_f32_e32 v13, 0x3e31d0d4, v53
	v_fmac_f32_e32 v9, -0.5, v60
	v_add_f32_e32 v15, v10, v47
	v_add_f32_e32 v14, v14, v21
	;; [unrolled: 1-line block ×3, first 2 shown]
	v_fmac_f32_e32 v13, -0.5, v51
	v_fma_f32 v6, 2.0, v6, v4
	s_delay_alu instid0(VALU_DEP_4) | instskip(SKIP_1) | instid1(VALU_DEP_4)
	v_dual_add_f32 v15, v20, v15 :: v_dual_add_f32 v14, v11, v14
	v_fmac_f32_e32 v9, 0x3f5db3d7, v55
	v_dual_fmac_f32 v13, 0xbf708fb2, v12 :: v_dual_sub_f32 v12, v46, v45
	s_delay_alu instid0(VALU_DEP_3) | instskip(SKIP_1) | instid1(VALU_DEP_3)
	v_dual_add_f32 v15, v15, v19 :: v_dual_add_f32 v14, v14, v18
	v_fma_f32 v7, -2.0, v7, v5
	v_add_f32_e32 v13, v44, v13
	s_delay_alu instid0(VALU_DEP_4)
	v_fma_f32 v18, 2.0, v45, v12
	v_fma_f32 v10, 2.0, v58, v8
	v_fma_f32 v11, -2.0, v59, v9
	v_fma_f32 v2, 2.0, v2, v0
	v_fma_f32 v19, -2.0, v44, v13
	v_fma_f32 v3, -2.0, v3, v1
	ds_store_2addr_b64 v86, v[14:15], v[0:1] offset1:7
	ds_store_2addr_b64 v86, v[4:5], v[8:9] offset0:14 offset1:21
	ds_store_2addr_b64 v86, v[12:13], v[18:19] offset0:28 offset1:35
	ds_store_2addr_b64 v86, v[10:11], v[6:7] offset0:42 offset1:49
	ds_store_b64 v86, v[2:3] offset:448
	global_wb scope:SCOPE_SE
	s_wait_dscnt 0x0
	s_barrier_signal -1
	s_barrier_wait -1
	global_inv scope:SCOPE_SE
	ds_load_2addr_b64 v[0:3], v83 offset0:126 offset1:189
	ds_load_2addr_b64 v[4:7], v17 offset0:122 offset1:185
	;; [unrolled: 1-line block ×3, first 2 shown]
	ds_load_b64 v[18:19], v83 offset:4032
	ds_load_2addr_b64 v[12:15], v83 offset1:63
	global_wb scope:SCOPE_SE
	s_wait_dscnt 0x0
	s_barrier_signal -1
	s_barrier_wait -1
	global_inv scope:SCOPE_SE
	v_mul_f32_e32 v20, v29, v3
	v_mul_f32_e32 v22, v31, v5
	s_delay_alu instid0(VALU_DEP_2) | instskip(SKIP_1) | instid1(VALU_DEP_3)
	v_fmac_f32_e32 v20, v28, v2
	v_dual_mul_f32 v21, v29, v2 :: v_dual_mul_f32 v2, v31, v4
	v_dual_fmac_f32 v22, v30, v4 :: v_dual_mul_f32 v23, v31, v7
	v_mul_f32_e32 v4, v29, v8
	s_delay_alu instid0(VALU_DEP_3) | instskip(SKIP_1) | instid1(VALU_DEP_4)
	v_fma_f32 v5, v30, v5, -v2
	v_mul_f32_e32 v2, v31, v6
	v_dual_fmac_f32 v23, v30, v6 :: v_dual_add_f32 v6, v12, v20
	v_fma_f32 v3, v28, v3, -v21
	v_mul_f32_e32 v21, v29, v9
	v_fma_f32 v9, v28, v9, -v4
	v_dual_mul_f32 v4, v25, v10 :: v_dual_mul_f32 v29, v27, v19
	s_delay_alu instid0(VALU_DEP_3) | instskip(SKIP_4) | instid1(VALU_DEP_4)
	v_dual_fmac_f32 v21, v28, v8 :: v_dual_sub_f32 v8, v3, v5
	v_mul_f32_e32 v28, v25, v11
	v_fma_f32 v25, v30, v7, -v2
	v_mul_f32_e32 v2, v27, v18
	v_mad_co_u64_u32 v[30:31], null, s6, v64, 0
	v_fmac_f32_e32 v28, v24, v10
	v_fma_f32 v24, v24, v11, -v4
	v_add_f32_e32 v4, v20, v22
	v_fma_f32 v19, v26, v19, -v2
	v_dual_add_f32 v10, v13, v3 :: v_dual_sub_f32 v11, v20, v22
	s_delay_alu instid0(VALU_DEP_3) | instskip(SKIP_2) | instid1(VALU_DEP_3)
	v_fma_f32 v2, -0.5, v4, v12
	v_dual_add_f32 v7, v3, v5 :: v_dual_add_f32 v4, v6, v22
	v_dual_fmac_f32 v29, v26, v18 :: v_dual_sub_f32 v12, v9, v25
	v_fmamk_f32 v6, v8, 0xbf5db3d7, v2
	v_fmac_f32_e32 v2, 0x3f5db3d7, v8
	s_delay_alu instid0(VALU_DEP_4) | instskip(SKIP_2) | instid1(VALU_DEP_3)
	v_fma_f32 v3, -0.5, v7, v13
	v_dual_add_f32 v8, v21, v23 :: v_dual_add_f32 v5, v10, v5
	v_dual_add_f32 v10, v14, v21 :: v_dual_sub_f32 v13, v21, v23
	v_dual_add_f32 v18, v0, v28 :: v_dual_fmamk_f32 v7, v11, 0x3f5db3d7, v3
	v_fmac_f32_e32 v3, 0xbf5db3d7, v11
	v_add_f32_e32 v11, v9, v25
	v_fma_f32 v14, -0.5, v8, v14
	v_dual_add_f32 v8, v10, v23 :: v_dual_add_f32 v9, v15, v9
	v_sub_f32_e32 v20, v24, v19
	s_delay_alu instid0(VALU_DEP_3) | instskip(SKIP_3) | instid1(VALU_DEP_4)
	v_dual_fmac_f32 v15, -0.5, v11 :: v_dual_fmamk_f32 v10, v12, 0xbf5db3d7, v14
	v_fmac_f32_e32 v14, 0x3f5db3d7, v12
	v_add_f32_e32 v12, v28, v29
	v_add_f32_e32 v9, v9, v25
	v_dual_fmamk_f32 v11, v13, 0x3f5db3d7, v15 :: v_dual_sub_f32 v22, v28, v29
	v_add_f32_e32 v21, v1, v24
	s_delay_alu instid0(VALU_DEP_4) | instskip(SKIP_2) | instid1(VALU_DEP_3)
	v_fma_f32 v0, -0.5, v12, v0
	v_fmac_f32_e32 v15, 0xbf5db3d7, v13
	v_dual_add_f32 v13, v24, v19 :: v_dual_add_f32 v12, v18, v29
	v_fmamk_f32 v18, v20, 0xbf5db3d7, v0
	s_delay_alu instid0(VALU_DEP_2) | instskip(SKIP_2) | instid1(VALU_DEP_3)
	v_dual_fmac_f32 v0, 0x3f5db3d7, v20 :: v_dual_fmac_f32 v1, -0.5, v13
	v_add_nc_u32_e32 v20, 0x800, v87
	v_add_f32_e32 v13, v21, v19
	v_fmamk_f32 v19, v22, 0x3f5db3d7, v1
	v_fmac_f32_e32 v1, 0xbf5db3d7, v22
	ds_store_2addr_b64 v83, v[4:5], v[6:7] offset1:63
	ds_store_2addr_b64 v83, v[2:3], v[8:9] offset0:126 offset1:189
	ds_store_2addr_b64 v16, v[10:11], v[14:15] offset0:124 offset1:187
	;; [unrolled: 1-line block ×3, first 2 shown]
	ds_store_b64 v87, v[0:1] offset:4032
	global_wb scope:SCOPE_SE
	s_wait_dscnt 0x0
	s_barrier_signal -1
	s_barrier_wait -1
	global_inv scope:SCOPE_SE
	ds_load_2addr_b64 v[0:3], v83 offset0:126 offset1:189
	ds_load_2addr_b64 v[4:7], v17 offset0:122 offset1:185
	;; [unrolled: 1-line block ×3, first 2 shown]
	ds_load_b64 v[18:19], v83 offset:4032
	ds_load_2addr_b64 v[12:15], v83 offset1:63
	s_wait_dscnt 0x4
	v_mul_f32_e32 v20, v41, v3
	s_wait_dscnt 0x3
	v_dual_mul_f32 v22, v43, v5 :: v_dual_mul_f32 v21, v41, v2
	v_mul_f32_e32 v23, v39, v7
	s_wait_dscnt 0x2
	v_mul_f32_e32 v24, v33, v11
	v_fmac_f32_e32 v20, v40, v2
	v_mul_f32_e32 v2, v43, v4
	v_fmac_f32_e32 v22, v42, v4
	v_fma_f32 v3, v40, v3, -v21
	v_mul_f32_e32 v21, v37, v9
	v_mul_f32_e32 v4, v37, v8
	v_fma_f32 v5, v42, v5, -v2
	v_mul_f32_e32 v2, v39, v6
	v_fmac_f32_e32 v23, v38, v6
	v_fmac_f32_e32 v21, v36, v8
	v_fma_f32 v9, v36, v9, -v4
	v_mul_f32_e32 v4, v33, v10
	v_fma_f32 v25, v38, v7, -v2
	v_add_f32_e32 v7, v3, v5
	s_wait_dscnt 0x1
	v_mul_f32_e32 v26, v35, v19
	v_fmac_f32_e32 v24, v32, v10
	v_fma_f32 v27, v32, v11, -v4
	v_sub_f32_e32 v8, v3, v5
	s_wait_dscnt 0x0
	v_add_f32_e32 v10, v13, v3
	v_fma_f32 v3, -0.5, v7, v13
	v_sub_f32_e32 v11, v20, v22
	v_mul_f32_e32 v2, v35, v18
	v_add_f32_e32 v4, v20, v22
	v_fmac_f32_e32 v26, v34, v18
	s_delay_alu instid0(VALU_DEP_4)
	v_dual_add_f32 v6, v12, v20 :: v_dual_fmamk_f32 v7, v11, 0x3f5db3d7, v3
	v_fmac_f32_e32 v3, 0xbf5db3d7, v11
	v_add_f32_e32 v11, v9, v25
	v_fma_f32 v19, v34, v19, -v2
	v_fma_f32 v2, -0.5, v4, v12
	v_sub_f32_e32 v12, v9, v25
	v_dual_add_f32 v9, v15, v9 :: v_dual_add_f32 v4, v6, v22
	v_sub_f32_e32 v13, v21, v23
	s_delay_alu instid0(VALU_DEP_4) | instskip(NEXT) | instid1(VALU_DEP_3)
	v_dual_fmac_f32 v15, -0.5, v11 :: v_dual_fmamk_f32 v6, v8, 0xbf5db3d7, v2
	v_dual_add_f32 v9, v9, v25 :: v_dual_fmac_f32 v2, 0x3f5db3d7, v8
	s_delay_alu instid0(VALU_DEP_2)
	v_dual_sub_f32 v20, v27, v19 :: v_dual_fmamk_f32 v11, v13, 0x3f5db3d7, v15
	v_fmac_f32_e32 v15, 0xbf5db3d7, v13
	v_add_f32_e32 v5, v10, v5
	v_dual_add_f32 v10, v14, v21 :: v_dual_add_f32 v13, v27, v19
	v_add_f32_e32 v8, v21, v23
	v_dual_add_f32 v18, v0, v24 :: v_dual_add_f32 v21, v1, v27
	s_delay_alu instid0(VALU_DEP_3) | instskip(NEXT) | instid1(VALU_DEP_3)
	v_dual_sub_f32 v22, v24, v26 :: v_dual_fmac_f32 v1, -0.5, v13
	v_fma_f32 v14, -0.5, v8, v14
	v_mad_co_u64_u32 v[32:33], null, s4, v84, 0
	s_delay_alu instid0(VALU_DEP_4)
	v_add_f32_e32 v13, v21, v19
	v_add_f32_e32 v8, v10, v23
	v_fmamk_f32 v19, v22, 0x3f5db3d7, v1
	v_dual_fmac_f32 v1, 0xbf5db3d7, v22 :: v_dual_fmamk_f32 v10, v12, 0xbf5db3d7, v14
	v_fmac_f32_e32 v14, 0x3f5db3d7, v12
	v_add_f32_e32 v12, v24, v26
	v_mad_co_u64_u32 v[34:35], null, s7, v64, v[31:32]
	s_mul_u64 s[6:7], s[4:5], 0x51
	s_delay_alu instid0(VALU_DEP_2) | instskip(SKIP_3) | instid1(VALU_DEP_2)
	v_fma_f32 v0, -0.5, v12, v0
	v_add_f32_e32 v12, v18, v26
	s_wait_alu 0xfffe
	s_lshl_b64 s[6:7], s[6:7], 3
	v_dual_mov_b32 v31, v34 :: v_dual_fmamk_f32 v18, v20, 0xbf5db3d7, v0
	v_fmac_f32_e32 v0, 0x3f5db3d7, v20
	ds_store_b64 v83, v[6:7] offset:1512
	ds_store_b64 v83, v[2:3] offset:3024
	ds_store_2addr_b64 v83, v[4:5], v[8:9] offset1:63
	ds_store_b64 v83, v[14:15] offset:3528
	ds_store_b64 v83, v[12:13] offset:1008
	ds_store_2addr_b64 v16, v[10:11], v[18:19] offset0:124 offset1:187
	ds_store_b64 v83, v[0:1] offset:4032
	global_wb scope:SCOPE_SE
	s_wait_dscnt 0x0
	s_barrier_signal -1
	s_barrier_wait -1
	global_inv scope:SCOPE_SE
	ds_load_2addr_b64 v[0:3], v83 offset1:81
	ds_load_2addr_b64 v[4:7], v83 offset0:162 offset1:243
	ds_load_2addr_b64 v[8:11], v17 offset0:68 offset1:149
	v_mad_co_u64_u32 v[33:34], null, s5, v84, v[33:34]
	v_lshlrev_b64_e32 v[30:31], 3, v[30:31]
	s_delay_alu instid0(VALU_DEP_1) | instskip(SKIP_1) | instid1(VALU_DEP_2)
	v_add_co_u32 v30, s0, s10, v30
	s_wait_alu 0xf1ff
	v_add_co_ci_u32_e64 v31, s0, s11, v31, s0
	s_wait_dscnt 0x2
	v_mul_f32_e32 v12, v72, v1
	v_dual_mul_f32 v13, v72, v0 :: v_dual_mul_f32 v14, v74, v3
	v_mul_f32_e32 v15, v74, v2
	s_wait_dscnt 0x0
	v_mul_f32_e32 v24, v70, v9
	v_fmac_f32_e32 v12, v71, v0
	v_fma_f32 v13, v71, v1, -v13
	v_fmac_f32_e32 v14, v73, v2
	v_fma_f32 v18, v73, v3, -v15
	v_mul_f32_e32 v20, v66, v5
	v_cvt_f64_f32_e32 v[0:1], v12
	v_cvt_f64_f32_e32 v[2:3], v13
	v_cvt_f64_f32_e32 v[12:13], v14
	ds_load_b64 v[14:15], v83 offset:3888
	v_dual_mul_f32 v21, v66, v4 :: v_dual_mul_f32 v22, v68, v7
	v_dual_mul_f32 v23, v68, v6 :: v_dual_fmac_f32 v24, v69, v8
	v_mul_f32_e32 v8, v70, v8
	v_mul_f32_e32 v26, v76, v11
	v_dual_mul_f32 v27, v76, v10 :: v_dual_fmac_f32 v20, v65, v4
	v_fma_f32 v21, v65, v5, -v21
	v_fmac_f32_e32 v22, v67, v6
	v_fma_f32 v23, v67, v7, -v23
	v_fma_f32 v8, v69, v9, -v8
	v_fmac_f32_e32 v26, v75, v10
	v_fma_f32 v27, v75, v11, -v27
	v_cvt_f64_f32_e32 v[18:19], v18
	v_cvt_f64_f32_e32 v[4:5], v20
	;; [unrolled: 1-line block ×5, first 2 shown]
	s_wait_dscnt 0x0
	v_mul_f32_e32 v28, v78, v15
	v_mul_f32_e32 v29, v78, v14
	v_cvt_f64_f32_e32 v[24:25], v24
	v_cvt_f64_f32_e32 v[8:9], v8
	;; [unrolled: 1-line block ×3, first 2 shown]
	v_fmac_f32_e32 v28, v77, v14
	v_fma_f32 v29, v77, v15, -v29
	v_cvt_f64_f32_e32 v[14:15], v27
	s_delay_alu instid0(VALU_DEP_3) | instskip(NEXT) | instid1(VALU_DEP_3)
	v_cvt_f64_f32_e32 v[26:27], v28
	v_cvt_f64_f32_e32 v[28:29], v29
	v_mul_f64_e32 v[0:1], s[2:3], v[0:1]
	v_mul_f64_e32 v[2:3], s[2:3], v[2:3]
	;; [unrolled: 1-line block ×14, first 2 shown]
	v_cvt_f32_f64_e32 v0, v[0:1]
	v_cvt_f32_f64_e32 v1, v[2:3]
	v_lshlrev_b64_e32 v[2:3], 3, v[32:33]
	v_cvt_f32_f64_e32 v12, v[12:13]
	s_delay_alu instid0(VALU_DEP_2) | instskip(SKIP_1) | instid1(VALU_DEP_3)
	v_add_co_u32 v2, s0, v30, v2
	s_wait_alu 0xf1ff
	v_add_co_ci_u32_e64 v3, s0, v31, v3, s0
	v_cvt_f32_f64_e32 v13, v[18:19]
	v_cvt_f32_f64_e32 v4, v[4:5]
	;; [unrolled: 1-line block ×9, first 2 shown]
	s_wait_alu 0xfffe
	v_add_co_u32 v14, s0, v2, s6
	v_cvt_f32_f64_e32 v10, v[26:27]
	v_cvt_f32_f64_e32 v11, v[28:29]
	s_wait_alu 0xf1ff
	v_add_co_ci_u32_e64 v15, s0, s7, v3, s0
	v_add_co_u32 v20, s0, v14, s6
	global_store_b64 v[2:3], v[0:1], off
	s_wait_alu 0xf1ff
	v_add_co_ci_u32_e64 v21, s0, s7, v15, s0
	v_add_co_u32 v22, s0, v20, s6
	s_wait_alu 0xf1ff
	s_delay_alu instid0(VALU_DEP_2) | instskip(NEXT) | instid1(VALU_DEP_2)
	v_add_co_ci_u32_e64 v23, s0, s7, v21, s0
	v_add_co_u32 v24, s0, v22, s6
	s_wait_alu 0xf1ff
	s_delay_alu instid0(VALU_DEP_2) | instskip(NEXT) | instid1(VALU_DEP_2)
	;; [unrolled: 4-line block ×3, first 2 shown]
	v_add_co_ci_u32_e64 v3, s0, s7, v25, s0
	v_add_co_u32 v0, s0, v2, s6
	global_store_b64 v[14:15], v[12:13], off
	s_wait_alu 0xf1ff
	v_add_co_ci_u32_e64 v1, s0, s7, v3, s0
	s_clause 0x2
	global_store_b64 v[20:21], v[4:5], off
	global_store_b64 v[22:23], v[6:7], off
	;; [unrolled: 1-line block ×5, first 2 shown]
	s_and_b32 exec_lo, exec_lo, vcc_lo
	s_cbranch_execz .LBB0_15
; %bb.14:
	s_clause 0x4
	global_load_b64 v[14:15], v[62:63], off offset:504
	global_load_b64 v[18:19], v[62:63], off offset:1152
	;; [unrolled: 1-line block ×5, first 2 shown]
	ds_load_2addr_b64 v[2:5], v83 offset0:63 offset1:144
	ds_load_2addr_b64 v[6:9], v16 offset0:97 offset1:178
	;; [unrolled: 1-line block ×3, first 2 shown]
	v_mad_co_u64_u32 v[0:1], null, 0xfffff2c8, s4, v[0:1]
	s_mul_i32 s0, s5, 0xfffff2c8
	s_wait_alu 0xfffe
	s_sub_co_i32 s0, s0, s4
	s_wait_loadcnt_dscnt 0x402
	s_wait_alu 0xfffe
	s_delay_alu instid0(VALU_DEP_1)
	v_dual_mul_f32 v16, v3, v15 :: v_dual_add_nc_u32 v1, s0, v1
	s_wait_loadcnt_dscnt 0x201
	v_dual_mul_f32 v15, v2, v15 :: v_dual_mul_f32 v26, v7, v21
	s_wait_loadcnt_dscnt 0x0
	v_dual_mul_f32 v17, v5, v19 :: v_dual_mul_f32 v28, v11, v25
	v_mul_f32_e32 v21, v6, v21
	v_dual_mul_f32 v19, v4, v19 :: v_dual_fmac_f32 v16, v2, v14
	v_dual_mul_f32 v27, v9, v23 :: v_dual_fmac_f32 v26, v6, v20
	s_delay_alu instid0(VALU_DEP_4)
	v_dual_mul_f32 v23, v8, v23 :: v_dual_fmac_f32 v28, v10, v24
	v_mul_f32_e32 v25, v10, v25
	v_fma_f32 v14, v14, v3, -v15
	v_fmac_f32_e32 v17, v4, v18
	v_fma_f32 v15, v18, v5, -v19
	v_fma_f32 v18, v20, v7, -v21
	v_fmac_f32_e32 v27, v8, v22
	v_fma_f32 v19, v22, v9, -v23
	v_fma_f32 v22, v24, v11, -v25
	v_cvt_f64_f32_e32 v[2:3], v16
	v_cvt_f64_f32_e32 v[4:5], v14
	;; [unrolled: 1-line block ×10, first 2 shown]
	v_mul_f64_e32 v[2:3], s[2:3], v[2:3]
	v_mul_f64_e32 v[4:5], s[2:3], v[4:5]
	;; [unrolled: 1-line block ×10, first 2 shown]
	v_cvt_f32_f64_e32 v2, v[2:3]
	v_cvt_f32_f64_e32 v3, v[4:5]
	;; [unrolled: 1-line block ×10, first 2 shown]
	v_add_co_u32 v14, vcc_lo, v0, s6
	s_wait_alu 0xfffd
	v_add_co_ci_u32_e32 v15, vcc_lo, s7, v1, vcc_lo
	s_delay_alu instid0(VALU_DEP_2) | instskip(SKIP_1) | instid1(VALU_DEP_2)
	v_add_co_u32 v16, vcc_lo, v14, s6
	s_wait_alu 0xfffd
	v_add_co_ci_u32_e32 v17, vcc_lo, s7, v15, vcc_lo
	s_delay_alu instid0(VALU_DEP_2) | instskip(SKIP_1) | instid1(VALU_DEP_2)
	;; [unrolled: 4-line block ×3, first 2 shown]
	v_add_co_u32 v20, vcc_lo, v18, s6
	s_wait_alu 0xfffd
	v_add_co_ci_u32_e32 v21, vcc_lo, s7, v19, vcc_lo
	global_store_b64 v[0:1], v[2:3], off
	global_store_b64 v[14:15], v[4:5], off
	;; [unrolled: 1-line block ×5, first 2 shown]
	global_load_b64 v[0:1], v[62:63], off offset:3744
	ds_load_b64 v[4:5], v83 offset:4392
	s_wait_loadcnt 0x0
	v_mul_f32_e32 v2, v13, v1
	v_mul_f32_e32 v1, v12, v1
	s_delay_alu instid0(VALU_DEP_2) | instskip(NEXT) | instid1(VALU_DEP_2)
	v_fmac_f32_e32 v2, v12, v0
	v_fma_f32 v3, v0, v13, -v1
	s_delay_alu instid0(VALU_DEP_2) | instskip(NEXT) | instid1(VALU_DEP_2)
	v_cvt_f64_f32_e32 v[0:1], v2
	v_cvt_f64_f32_e32 v[2:3], v3
	s_delay_alu instid0(VALU_DEP_2) | instskip(NEXT) | instid1(VALU_DEP_2)
	v_mul_f64_e32 v[0:1], s[2:3], v[0:1]
	v_mul_f64_e32 v[2:3], s[2:3], v[2:3]
	s_delay_alu instid0(VALU_DEP_2) | instskip(NEXT) | instid1(VALU_DEP_2)
	v_cvt_f32_f64_e32 v0, v[0:1]
	v_cvt_f32_f64_e32 v1, v[2:3]
	v_add_co_u32 v2, vcc_lo, v20, s6
	s_wait_alu 0xfffd
	v_add_co_ci_u32_e32 v3, vcc_lo, s7, v21, vcc_lo
	global_store_b64 v[2:3], v[0:1], off
	global_load_b64 v[0:1], v[62:63], off offset:4392
	v_add_co_u32 v2, vcc_lo, v2, s6
	s_wait_alu 0xfffd
	v_add_co_ci_u32_e32 v3, vcc_lo, s7, v3, vcc_lo
	s_wait_loadcnt_dscnt 0x0
	v_mul_f32_e32 v6, v5, v1
	v_mul_f32_e32 v1, v4, v1
	s_delay_alu instid0(VALU_DEP_2) | instskip(NEXT) | instid1(VALU_DEP_2)
	v_fmac_f32_e32 v6, v4, v0
	v_fma_f32 v4, v0, v5, -v1
	s_delay_alu instid0(VALU_DEP_2) | instskip(NEXT) | instid1(VALU_DEP_2)
	v_cvt_f64_f32_e32 v[0:1], v6
	v_cvt_f64_f32_e32 v[4:5], v4
	s_delay_alu instid0(VALU_DEP_2) | instskip(NEXT) | instid1(VALU_DEP_2)
	v_mul_f64_e32 v[0:1], s[2:3], v[0:1]
	v_mul_f64_e32 v[4:5], s[2:3], v[4:5]
	s_delay_alu instid0(VALU_DEP_2) | instskip(NEXT) | instid1(VALU_DEP_2)
	v_cvt_f32_f64_e32 v0, v[0:1]
	v_cvt_f32_f64_e32 v1, v[4:5]
	global_store_b64 v[2:3], v[0:1], off
.LBB0_15:
	s_nop 0
	s_sendmsg sendmsg(MSG_DEALLOC_VGPRS)
	s_endpgm
	.section	.rodata,"a",@progbits
	.p2align	6, 0x0
	.amdhsa_kernel bluestein_single_back_len567_dim1_sp_op_CI_CI
		.amdhsa_group_segment_fixed_size 4536
		.amdhsa_private_segment_fixed_size 0
		.amdhsa_kernarg_size 104
		.amdhsa_user_sgpr_count 2
		.amdhsa_user_sgpr_dispatch_ptr 0
		.amdhsa_user_sgpr_queue_ptr 0
		.amdhsa_user_sgpr_kernarg_segment_ptr 1
		.amdhsa_user_sgpr_dispatch_id 0
		.amdhsa_user_sgpr_private_segment_size 0
		.amdhsa_wavefront_size32 1
		.amdhsa_uses_dynamic_stack 0
		.amdhsa_enable_private_segment 0
		.amdhsa_system_sgpr_workgroup_id_x 1
		.amdhsa_system_sgpr_workgroup_id_y 0
		.amdhsa_system_sgpr_workgroup_id_z 0
		.amdhsa_system_sgpr_workgroup_info 0
		.amdhsa_system_vgpr_workitem_id 0
		.amdhsa_next_free_vgpr 111
		.amdhsa_next_free_sgpr 16
		.amdhsa_reserve_vcc 1
		.amdhsa_float_round_mode_32 0
		.amdhsa_float_round_mode_16_64 0
		.amdhsa_float_denorm_mode_32 3
		.amdhsa_float_denorm_mode_16_64 3
		.amdhsa_fp16_overflow 0
		.amdhsa_workgroup_processor_mode 1
		.amdhsa_memory_ordered 1
		.amdhsa_forward_progress 0
		.amdhsa_round_robin_scheduling 0
		.amdhsa_exception_fp_ieee_invalid_op 0
		.amdhsa_exception_fp_denorm_src 0
		.amdhsa_exception_fp_ieee_div_zero 0
		.amdhsa_exception_fp_ieee_overflow 0
		.amdhsa_exception_fp_ieee_underflow 0
		.amdhsa_exception_fp_ieee_inexact 0
		.amdhsa_exception_int_div_zero 0
	.end_amdhsa_kernel
	.text
.Lfunc_end0:
	.size	bluestein_single_back_len567_dim1_sp_op_CI_CI, .Lfunc_end0-bluestein_single_back_len567_dim1_sp_op_CI_CI
                                        ; -- End function
	.section	.AMDGPU.csdata,"",@progbits
; Kernel info:
; codeLenInByte = 10476
; NumSgprs: 18
; NumVgprs: 111
; ScratchSize: 0
; MemoryBound: 0
; FloatMode: 240
; IeeeMode: 1
; LDSByteSize: 4536 bytes/workgroup (compile time only)
; SGPRBlocks: 2
; VGPRBlocks: 13
; NumSGPRsForWavesPerEU: 18
; NumVGPRsForWavesPerEU: 111
; Occupancy: 12
; WaveLimiterHint : 1
; COMPUTE_PGM_RSRC2:SCRATCH_EN: 0
; COMPUTE_PGM_RSRC2:USER_SGPR: 2
; COMPUTE_PGM_RSRC2:TRAP_HANDLER: 0
; COMPUTE_PGM_RSRC2:TGID_X_EN: 1
; COMPUTE_PGM_RSRC2:TGID_Y_EN: 0
; COMPUTE_PGM_RSRC2:TGID_Z_EN: 0
; COMPUTE_PGM_RSRC2:TIDIG_COMP_CNT: 0
	.text
	.p2alignl 7, 3214868480
	.fill 96, 4, 3214868480
	.type	__hip_cuid_4020da711c5df379,@object ; @__hip_cuid_4020da711c5df379
	.section	.bss,"aw",@nobits
	.globl	__hip_cuid_4020da711c5df379
__hip_cuid_4020da711c5df379:
	.byte	0                               ; 0x0
	.size	__hip_cuid_4020da711c5df379, 1

	.ident	"AMD clang version 19.0.0git (https://github.com/RadeonOpenCompute/llvm-project roc-6.4.0 25133 c7fe45cf4b819c5991fe208aaa96edf142730f1d)"
	.section	".note.GNU-stack","",@progbits
	.addrsig
	.addrsig_sym __hip_cuid_4020da711c5df379
	.amdgpu_metadata
---
amdhsa.kernels:
  - .args:
      - .actual_access:  read_only
        .address_space:  global
        .offset:         0
        .size:           8
        .value_kind:     global_buffer
      - .actual_access:  read_only
        .address_space:  global
        .offset:         8
        .size:           8
        .value_kind:     global_buffer
      - .actual_access:  read_only
        .address_space:  global
        .offset:         16
        .size:           8
        .value_kind:     global_buffer
      - .actual_access:  read_only
        .address_space:  global
        .offset:         24
        .size:           8
        .value_kind:     global_buffer
      - .actual_access:  read_only
        .address_space:  global
        .offset:         32
        .size:           8
        .value_kind:     global_buffer
      - .offset:         40
        .size:           8
        .value_kind:     by_value
      - .address_space:  global
        .offset:         48
        .size:           8
        .value_kind:     global_buffer
      - .address_space:  global
        .offset:         56
        .size:           8
        .value_kind:     global_buffer
      - .address_space:  global
        .offset:         64
        .size:           8
        .value_kind:     global_buffer
      - .address_space:  global
        .offset:         72
        .size:           8
        .value_kind:     global_buffer
      - .offset:         80
        .size:           4
        .value_kind:     by_value
      - .address_space:  global
        .offset:         88
        .size:           8
        .value_kind:     global_buffer
      - .address_space:  global
        .offset:         96
        .size:           8
        .value_kind:     global_buffer
    .group_segment_fixed_size: 4536
    .kernarg_segment_align: 8
    .kernarg_segment_size: 104
    .language:       OpenCL C
    .language_version:
      - 2
      - 0
    .max_flat_workgroup_size: 63
    .name:           bluestein_single_back_len567_dim1_sp_op_CI_CI
    .private_segment_fixed_size: 0
    .sgpr_count:     18
    .sgpr_spill_count: 0
    .symbol:         bluestein_single_back_len567_dim1_sp_op_CI_CI.kd
    .uniform_work_group_size: 1
    .uses_dynamic_stack: false
    .vgpr_count:     111
    .vgpr_spill_count: 0
    .wavefront_size: 32
    .workgroup_processor_mode: 1
amdhsa.target:   amdgcn-amd-amdhsa--gfx1201
amdhsa.version:
  - 1
  - 2
...

	.end_amdgpu_metadata
